;; amdgpu-corpus repo=zjin-lcf/HeCBench kind=compiled arch=gfx950 opt=O3
	.amdgcn_target "amdgcn-amd-amdhsa--gfx950"
	.amdhsa_code_object_version 6
	.text
	.protected	_Z8fill_sigPdS_S_PKdS1_i ; -- Begin function _Z8fill_sigPdS_S_PKdS1_i
	.globl	_Z8fill_sigPdS_S_PKdS1_i
	.p2align	8
	.type	_Z8fill_sigPdS_S_PKdS1_i,@function
_Z8fill_sigPdS_S_PKdS1_i:               ; @_Z8fill_sigPdS_S_PKdS1_i
; %bb.0:
	s_load_dword s3, s[0:1], 0x3c
	s_load_dword s4, s[0:1], 0x28
	s_waitcnt lgkmcnt(0)
	s_and_b32 s3, s3, 0xffff
	s_mul_i32 s2, s2, s3
	v_add_u32_e32 v0, s2, v0
	v_cmp_gt_i32_e32 vcc, s4, v0
	s_and_saveexec_b64 s[2:3], vcc
	s_cbranch_execz .LBB0_2
; %bb.1:
	s_load_dwordx8 s[4:11], s[0:1], 0x0
	s_load_dwordx2 s[2:3], s[0:1], 0x20
	v_ashrrev_i32_e32 v1, 31, v0
	v_lshlrev_b64 v[0:1], 3, v[0:1]
	s_waitcnt lgkmcnt(0)
	v_lshl_add_u64 v[2:3], s[10:11], 0, v[0:1]
	v_lshl_add_u64 v[4:5], s[2:3], 0, v[0:1]
	global_load_dwordx2 v[6:7], v[2:3], off
	global_load_dwordx2 v[8:9], v[4:5], off
	v_lshl_add_u64 v[2:3], s[8:9], 0, v[0:1]
	v_lshl_add_u64 v[4:5], s[6:7], 0, v[0:1]
	;; [unrolled: 1-line block ×3, first 2 shown]
	s_waitcnt vmcnt(0)
	v_add_f64 v[6:7], -v[6:7], -v[8:9]
	global_store_dwordx2 v[2:3], v[6:7], off
	global_store_dwordx2 v[4:5], v[6:7], off
	;; [unrolled: 1-line block ×3, first 2 shown]
.LBB0_2:
	s_endpgm
	.section	.rodata,"a",@progbits
	.p2align	6, 0x0
	.amdhsa_kernel _Z8fill_sigPdS_S_PKdS1_i
		.amdhsa_group_segment_fixed_size 0
		.amdhsa_private_segment_fixed_size 0
		.amdhsa_kernarg_size 304
		.amdhsa_user_sgpr_count 2
		.amdhsa_user_sgpr_dispatch_ptr 0
		.amdhsa_user_sgpr_queue_ptr 0
		.amdhsa_user_sgpr_kernarg_segment_ptr 1
		.amdhsa_user_sgpr_dispatch_id 0
		.amdhsa_user_sgpr_kernarg_preload_length 0
		.amdhsa_user_sgpr_kernarg_preload_offset 0
		.amdhsa_user_sgpr_private_segment_size 0
		.amdhsa_uses_dynamic_stack 0
		.amdhsa_enable_private_segment 0
		.amdhsa_system_sgpr_workgroup_id_x 1
		.amdhsa_system_sgpr_workgroup_id_y 0
		.amdhsa_system_sgpr_workgroup_id_z 0
		.amdhsa_system_sgpr_workgroup_info 0
		.amdhsa_system_vgpr_workitem_id 0
		.amdhsa_next_free_vgpr 10
		.amdhsa_next_free_sgpr 12
		.amdhsa_accum_offset 12
		.amdhsa_reserve_vcc 1
		.amdhsa_float_round_mode_32 0
		.amdhsa_float_round_mode_16_64 0
		.amdhsa_float_denorm_mode_32 3
		.amdhsa_float_denorm_mode_16_64 3
		.amdhsa_dx10_clamp 1
		.amdhsa_ieee_mode 1
		.amdhsa_fp16_overflow 0
		.amdhsa_tg_split 0
		.amdhsa_exception_fp_ieee_invalid_op 0
		.amdhsa_exception_fp_denorm_src 0
		.amdhsa_exception_fp_ieee_div_zero 0
		.amdhsa_exception_fp_ieee_overflow 0
		.amdhsa_exception_fp_ieee_underflow 0
		.amdhsa_exception_fp_ieee_inexact 0
		.amdhsa_exception_int_div_zero 0
	.end_amdhsa_kernel
	.text
.Lfunc_end0:
	.size	_Z8fill_sigPdS_S_PKdS1_i, .Lfunc_end0-_Z8fill_sigPdS_S_PKdS1_i
                                        ; -- End function
	.set _Z8fill_sigPdS_S_PKdS1_i.num_vgpr, 10
	.set _Z8fill_sigPdS_S_PKdS1_i.num_agpr, 0
	.set _Z8fill_sigPdS_S_PKdS1_i.numbered_sgpr, 12
	.set _Z8fill_sigPdS_S_PKdS1_i.num_named_barrier, 0
	.set _Z8fill_sigPdS_S_PKdS1_i.private_seg_size, 0
	.set _Z8fill_sigPdS_S_PKdS1_i.uses_vcc, 1
	.set _Z8fill_sigPdS_S_PKdS1_i.uses_flat_scratch, 0
	.set _Z8fill_sigPdS_S_PKdS1_i.has_dyn_sized_stack, 0
	.set _Z8fill_sigPdS_S_PKdS1_i.has_recursion, 0
	.set _Z8fill_sigPdS_S_PKdS1_i.has_indirect_call, 0
	.section	.AMDGPU.csdata,"",@progbits
; Kernel info:
; codeLenInByte = 176
; TotalNumSgprs: 18
; NumVgprs: 10
; NumAgprs: 0
; TotalNumVgprs: 10
; ScratchSize: 0
; MemoryBound: 0
; FloatMode: 240
; IeeeMode: 1
; LDSByteSize: 0 bytes/workgroup (compile time only)
; SGPRBlocks: 2
; VGPRBlocks: 1
; NumSGPRsForWavesPerEU: 18
; NumVGPRsForWavesPerEU: 10
; AccumOffset: 12
; Occupancy: 8
; WaveLimiterHint : 0
; COMPUTE_PGM_RSRC2:SCRATCH_EN: 0
; COMPUTE_PGM_RSRC2:USER_SGPR: 2
; COMPUTE_PGM_RSRC2:TRAP_HANDLER: 0
; COMPUTE_PGM_RSRC2:TGID_X_EN: 1
; COMPUTE_PGM_RSRC2:TGID_Y_EN: 0
; COMPUTE_PGM_RSRC2:TGID_Z_EN: 0
; COMPUTE_PGM_RSRC2:TIDIG_COMP_CNT: 0
; COMPUTE_PGM_RSRC3_GFX90A:ACCUM_OFFSET: 2
; COMPUTE_PGM_RSRC3_GFX90A:TG_SPLIT: 0
	.text
	.protected	_Z15integrateStressPdS_S_PKdS1_S1_PKiS1_S1_S1_S_i ; -- Begin function _Z15integrateStressPdS_S_PKdS1_S1_PKiS1_S1_S1_S_i
	.globl	_Z15integrateStressPdS_S_PKdS1_S1_PKiS1_S1_S1_S_i
	.p2align	8
	.type	_Z15integrateStressPdS_S_PKdS1_S1_PKiS1_S1_S1_S_i,@function
_Z15integrateStressPdS_S_PKdS1_S1_PKiS1_S1_S1_S_i: ; @_Z15integrateStressPdS_S_PKdS1_S1_PKiS1_S1_S1_S_i
; %bb.0:
	s_load_dword s3, s[0:1], 0x6c
	s_load_dword s4, s[0:1], 0x58
	s_waitcnt lgkmcnt(0)
	s_and_b32 s3, s3, 0xffff
	s_mul_i32 s2, s2, s3
	v_add_u32_e32 v8, s2, v0
	v_cmp_gt_i32_e32 vcc, s4, v8
	s_and_saveexec_b64 s[2:3], vcc
	s_cbranch_execz .LBB1_2
; %bb.1:
	s_load_dwordx8 s[12:19], s[0:1], 0x20
	v_lshlrev_b32_e32 v4, 3, v8
	v_ashrrev_i32_e32 v5, 31, v4
	s_load_dwordx8 s[4:11], s[0:1], 0x0
	v_ashrrev_i32_e32 v9, 31, v8
	s_waitcnt lgkmcnt(0)
	v_lshl_add_u64 v[6:7], v[4:5], 2, s[16:17]
	global_load_dwordx4 v[14:17], v[6:7], off
	global_load_dwordx4 v[0:3], v[6:7], off offset:16
	v_lshlrev_b64 v[8:9], 3, v[8:9]
	s_waitcnt vmcnt(1)
	v_ashrrev_i32_e32 v7, 31, v15
	v_mov_b32_e32 v6, v15
	v_ashrrev_i32_e32 v11, 31, v16
	v_mov_b32_e32 v10, v16
	;; [unrolled: 2-line block ×3, first 2 shown]
	v_ashrrev_i32_e32 v15, 31, v14
	s_waitcnt vmcnt(0)
	v_ashrrev_i32_e32 v17, 31, v1
	v_mov_b32_e32 v16, v1
	v_ashrrev_i32_e32 v19, 31, v2
	v_mov_b32_e32 v18, v2
	;; [unrolled: 2-line block ×3, first 2 shown]
	v_lshlrev_b64 v[2:3], 3, v[6:7]
	v_lshlrev_b64 v[6:7], 3, v[10:11]
	;; [unrolled: 1-line block ×4, first 2 shown]
	v_ashrrev_i32_e32 v1, 31, v0
	v_lshlrev_b64 v[14:15], 3, v[16:17]
	v_lshlrev_b64 v[16:17], 3, v[18:19]
	;; [unrolled: 1-line block ×3, first 2 shown]
	v_lshl_add_u64 v[20:21], s[10:11], 0, v[2:3]
	v_lshl_add_u64 v[24:25], s[10:11], 0, v[6:7]
	;; [unrolled: 1-line block ×11, first 2 shown]
	v_lshlrev_b64 v[0:1], 3, v[0:1]
	v_lshl_add_u64 v[6:7], s[14:15], 0, v[6:7]
	v_lshl_add_u64 v[52:53], s[10:11], 0, v[14:15]
	;; [unrolled: 1-line block ×10, first 2 shown]
	global_load_dwordx2 v[46:47], v[20:21], off
	global_load_dwordx2 v[38:39], v[24:25], off
	;; [unrolled: 1-line block ×6, first 2 shown]
                                        ; kill: killed $vgpr42_vgpr43
                                        ; kill: killed $vgpr24_vgpr25
                                        ; kill: killed $vgpr36_vgpr37
                                        ; kill: killed $vgpr32_vgpr33
                                        ; kill: killed $vgpr20_vgpr21
                                        ; kill: killed $vgpr30_vgpr31
	global_load_dwordx2 v[50:51], v[40:41], off
	s_nop 0
	global_load_dwordx2 v[32:33], v[44:45], off
	global_load_dwordx2 v[36:37], v[6:7], off
	;; [unrolled: 1-line block ×5, first 2 shown]
                                        ; kill: killed $vgpr10_vgpr11
                                        ; kill: killed $vgpr6_vgpr7
                                        ; kill: killed $vgpr2_vgpr3
                                        ; kill: killed $vgpr12_vgpr13
                                        ; kill: killed $vgpr40_vgpr41
                                        ; kill: killed $vgpr44_vgpr45
	s_nop 0
	global_load_dwordx2 v[44:45], v[54:55], off
	global_load_dwordx2 v[16:17], v[56:57], off
	;; [unrolled: 1-line block ×6, first 2 shown]
                                        ; kill: killed $vgpr56_vgpr57
                                        ; kill: killed $vgpr58_vgpr59
                                        ; kill: killed $vgpr54_vgpr55
                                        ; kill: killed $vgpr62_vgpr63
                                        ; kill: killed $vgpr60_vgpr61
                                        ; kill: killed $vgpr52_vgpr53
	global_load_dwordx2 v[42:43], v[64:65], off
	global_load_dwordx2 v[20:21], v[66:67], off
	;; [unrolled: 1-line block ×3, first 2 shown]
	v_lshl_add_u64 v[68:69], s[10:11], 0, v[0:1]
	v_lshl_add_u64 v[70:71], s[12:13], 0, v[0:1]
	;; [unrolled: 1-line block ×3, first 2 shown]
	global_load_dwordx2 v[14:15], v[68:69], off
	global_load_dwordx2 v[6:7], v[70:71], off
	global_load_dwordx2 v[0:1], v[52:53], off
	s_load_dwordx2 s[2:3], s[0:1], 0x50
	s_load_dwordx4 s[12:15], s[0:1], 0x40
	s_mov_b32 s0, 0
	s_mov_b32 s1, 0x3fd00000
	s_waitcnt lgkmcnt(0)
	v_lshl_add_u64 v[58:59], s[2:3], 0, v[8:9]
	s_waitcnt vmcnt(22)
	v_add_f64 v[60:61], v[46:47], v[38:39]
	s_waitcnt vmcnt(21)
	v_add_f64 v[52:53], v[38:39], v[26:27]
	v_add_f64 v[52:53], v[52:53], -v[46:47]
	v_add_f64 v[60:61], v[60:61], -v[26:27]
	s_waitcnt vmcnt(18)
	v_add_f64 v[54:55], v[34:35], v[22:23]
	v_add_f64 v[52:53], v[52:53], -v[28:29]
	v_add_f64 v[60:61], v[60:61], -v[28:29]
	v_mul_f64 v[92:93], v[52:53], 0.5
	v_mul_f64 v[60:61], v[60:61], 0.5
	s_waitcnt vmcnt(17)
	v_add_f64 v[62:63], v[50:51], v[34:35]
	v_add_f64 v[62:63], v[62:63], -v[22:23]
	v_add_f64 v[54:55], v[54:55], -v[50:51]
	s_waitcnt vmcnt(14)
	v_add_f64 v[56:57], v[36:37], v[24:25]
	s_waitcnt vmcnt(13)
	v_add_f64 v[64:65], v[48:49], v[36:37]
	v_add_f64 v[56:57], v[56:57], -v[48:49]
	v_add_f64 v[64:65], v[64:65], -v[24:25]
	s_waitcnt vmcnt(12)
	v_add_f64 v[56:57], v[56:57], -v[30:31]
	v_add_f64 v[62:63], v[62:63], -v[32:33]
	;; [unrolled: 1-line block ×4, first 2 shown]
	v_mul_f64 v[56:57], v[56:57], 0.5
	s_waitcnt vmcnt(11)
	v_add_f64 v[66:67], v[44:45], -v[28:29]
	s_waitcnt vmcnt(10)
	v_add_f64 v[70:71], v[16:17], -v[46:47]
	;; [unrolled: 2-line block ×6, first 2 shown]
	v_add_f64 v[90:91], v[68:69], v[66:67]
	v_add_f64 v[66:67], v[66:67], -v[68:69]
	v_add_f64 v[68:69], v[74:75], v[72:73]
	v_add_f64 v[72:73], v[72:73], -v[74:75]
	v_add_f64 v[66:67], v[66:67], v[70:71]
	v_add_f64 v[72:73], v[72:73], v[76:77]
	s_waitcnt vmcnt(5)
	v_add_f64 v[78:79], v[42:43], -v[30:31]
	s_waitcnt vmcnt(4)
	v_add_f64 v[82:83], v[20:21], -v[48:49]
	;; [unrolled: 2-line block ×3, first 2 shown]
	v_add_f64 v[74:75], v[80:81], v[78:79]
	s_waitcnt vmcnt(2)
	v_add_f64 v[84:85], v[14:15], -v[38:39]
	v_add_f64 v[78:79], v[78:79], -v[80:81]
	s_waitcnt vmcnt(0)
	v_add_f64 v[88:89], v[0:1], -v[36:37]
	v_add_f64 v[80:81], v[90:91], -v[70:71]
	v_add_f64 v[90:91], v[90:91], v[70:71]
	v_add_f64 v[70:71], v[68:69], -v[76:77]
	v_add_f64 v[68:69], v[68:69], v[76:77]
	v_add_f64 v[76:77], v[74:75], -v[82:83]
	v_mul_f64 v[62:63], v[62:63], 0.5
	v_add_f64 v[86:87], v[6:7], -v[34:35]
	v_add_f64 v[74:75], v[74:75], v[82:83]
	v_add_f64 v[78:79], v[78:79], v[82:83]
	;; [unrolled: 1-line block ×3, first 2 shown]
	v_mul_f64 v[54:55], v[54:55], 0.5
	v_mul_f64 v[64:65], v[64:65], 0.5
	v_add_f64 v[76:77], v[76:77], -v[88:89]
	v_mul_f64 v[52:53], v[62:63], v[56:57]
	v_add_f64 v[80:81], v[80:81], -v[84:85]
	v_add_f64 v[70:71], v[70:71], -v[86:87]
	v_add_f64 v[74:75], v[88:89], v[74:75]
	v_add_f64 v[78:79], v[78:79], -v[88:89]
	v_fma_f64 v[52:53], v[54:55], v[64:65], -v[52:53]
	v_mul_f64 v[64:65], v[92:93], v[64:65]
	v_mul_f64 v[88:89], v[60:61], v[54:55]
	v_ldexp_f64 v[90:91], v[90:91], -3
	v_ldexp_f64 v[76:77], v[76:77], -3
	v_add_f64 v[68:69], v[86:87], v[68:69]
	v_add_f64 v[72:73], v[72:73], -v[86:87]
	v_ldexp_f64 v[80:81], v[80:81], -3
	v_ldexp_f64 v[70:71], v[70:71], -3
	;; [unrolled: 1-line block ×3, first 2 shown]
	v_fma_f64 v[54:55], v[60:61], v[56:57], -v[64:65]
	v_fma_f64 v[56:57], v[92:93], v[62:63], -v[88:89]
	v_mul_f64 v[62:63], v[90:91], v[76:77]
	v_add_f64 v[66:67], v[66:67], -v[84:85]
	v_ldexp_f64 v[68:69], v[68:69], -3
	v_ldexp_f64 v[72:73], v[72:73], -3
	v_mul_f64 v[60:61], v[70:71], v[74:75]
	v_fma_f64 v[62:63], v[80:81], v[74:75], -v[62:63]
	v_ldexp_f64 v[66:67], v[66:67], -3
	v_mul_f64 v[64:65], v[80:81], v[68:69]
	v_fma_f64 v[60:61], v[68:69], v[76:77], -v[60:61]
	v_mul_f64 v[62:63], v[72:73], v[62:63]
	v_ldexp_f64 v[78:79], v[78:79], -3
	v_fma_f64 v[64:65], v[90:91], v[70:71], -v[64:65]
	v_fmac_f64_e32 v[62:63], v[66:67], v[60:61]
	v_fmac_f64_e32 v[62:63], v[64:65], v[78:79]
	v_ldexp_f64 v[60:61], v[62:63], 3
	global_store_dwordx2 v[58:59], v[60:61], off
	v_add_f64 v[60:61], v[14:15], v[12:13]
	v_add_f64 v[60:61], v[60:61], -v[46:47]
	v_add_f64 v[60:61], v[60:61], -v[28:29]
	v_mul_f64 v[64:65], v[60:61], 0.5
	v_add_f64 v[60:61], v[6:7], v[10:11]
	v_add_f64 v[60:61], v[60:61], -v[50:51]
	v_add_f64 v[86:87], v[48:49], v[2:3]
	v_add_f64 v[60:61], v[60:61], -v[32:33]
	v_add_f64 v[82:83], v[46:47], v[12:13]
	v_add_f64 v[84:85], v[50:51], v[10:11]
	v_add_f64 v[86:87], v[86:87], -v[0:1]
	v_mul_f64 v[66:67], v[60:61], 0.5
	v_add_f64 v[60:61], v[0:1], v[2:3]
	v_add_f64 v[82:83], v[82:83], -v[14:15]
	v_add_f64 v[84:85], v[84:85], -v[6:7]
	;; [unrolled: 1-line block ×6, first 2 shown]
	v_mul_f64 v[58:59], v[86:87], 0.5
	v_add_f64 v[60:61], v[60:61], -v[30:31]
	v_mul_f64 v[82:83], v[82:83], 0.5
	v_mul_f64 v[84:85], v[84:85], 0.5
	;; [unrolled: 1-line block ×3, first 2 shown]
	v_mul_f64 v[62:63], v[66:67], v[58:59]
	v_fma_f64 v[62:63], v[84:85], v[60:61], -v[62:63]
	v_mul_f64 v[60:61], v[82:83], v[60:61]
	v_fma_f64 v[60:61], v[64:65], v[58:59], -v[60:61]
	v_mul_f64 v[58:59], v[64:65], v[84:85]
	v_add_f64 v[64:65], v[38:39], v[44:45]
	v_add_f64 v[64:65], v[64:65], -v[12:13]
	v_add_f64 v[70:71], v[64:65], -v[46:47]
	v_add_f64 v[64:65], v[12:13], v[44:45]
	v_fma_f64 v[58:59], v[82:83], v[66:67], -v[58:59]
	v_add_f64 v[66:67], v[64:65], -v[38:39]
	v_add_f64 v[46:47], v[66:67], -v[46:47]
	v_add_f64 v[66:67], v[34:35], v[40:41]
	v_add_f64 v[66:67], v[66:67], -v[10:11]
	v_add_f64 v[72:73], v[66:67], -v[50:51]
	v_add_f64 v[66:67], v[10:11], v[40:41]
	;; [unrolled: 3-line block ×4, first 2 shown]
	v_add_f64 v[76:77], v[68:69], -v[36:37]
	v_add_f64 v[48:49], v[76:77], -v[48:49]
	v_mul_f64 v[74:75], v[74:75], 0.5
	v_mul_f64 v[76:77], v[50:51], 0.5
	;; [unrolled: 1-line block ×5, first 2 shown]
	v_mul_f64 v[50:51], v[76:77], v[74:75]
	v_mul_f64 v[46:47], v[46:47], 0.5
	v_fma_f64 v[50:51], v[72:73], v[48:49], -v[50:51]
	v_mul_f64 v[48:49], v[70:71], v[48:49]
	v_fma_f64 v[48:49], v[46:47], v[74:75], -v[48:49]
	v_mul_f64 v[46:47], v[46:47], v[72:73]
	v_fma_f64 v[46:47], v[70:71], v[76:77], -v[46:47]
	v_add_f64 v[70:71], v[26:27], v[16:17]
	v_add_f64 v[70:71], v[70:71], -v[44:45]
	v_add_f64 v[72:73], v[70:71], -v[38:39]
	v_add_f64 v[70:71], v[44:45], v[16:17]
	v_add_f64 v[44:45], v[70:71], -v[26:27]
	v_add_f64 v[38:39], v[44:45], -v[38:39]
	;; [unrolled: 3-line block ×6, first 2 shown]
	v_mul_f64 v[42:43], v[72:73], 0.5
	v_mul_f64 v[72:73], v[74:75], 0.5
	;; [unrolled: 1-line block ×6, first 2 shown]
	v_mul_f64 v[38:39], v[34:35], v[74:75]
	v_fma_f64 v[38:39], v[72:73], v[36:37], -v[38:39]
	v_mul_f64 v[72:73], v[76:77], v[72:73]
	v_mul_f64 v[36:37], v[42:43], v[36:37]
	v_fma_f64 v[34:35], v[42:43], v[34:35], -v[72:73]
	v_add_f64 v[42:43], v[14:15], v[16:17]
	v_add_f64 v[42:43], v[42:43], -v[28:29]
	v_add_f64 v[28:29], v[28:29], v[14:15]
	v_add_f64 v[28:29], v[28:29], -v[16:17]
	v_add_f64 v[28:29], v[28:29], -v[26:27]
	v_add_f64 v[26:27], v[42:43], -v[26:27]
	v_add_f64 v[42:43], v[6:7], v[18:19]
	v_add_f64 v[42:43], v[42:43], -v[32:33]
	v_add_f64 v[32:33], v[32:33], v[6:7]
	v_add_f64 v[32:33], v[32:33], -v[18:19]
	v_add_f64 v[32:33], v[32:33], -v[22:23]
	v_add_f64 v[22:23], v[42:43], -v[22:23]
	;; [unrolled: 6-line block ×3, first 2 shown]
	v_mul_f64 v[42:43], v[28:29], 0.5
	v_mul_f64 v[28:29], v[30:31], 0.5
	;; [unrolled: 1-line block ×5, first 2 shown]
	v_mul_f64 v[30:31], v[22:23], v[28:29]
	v_mul_f64 v[26:27], v[26:27], 0.5
	v_fma_f64 v[30:31], v[32:33], v[24:25], -v[30:31]
	v_mul_f64 v[24:25], v[42:43], v[24:25]
	v_fma_f64 v[28:29], v[26:27], v[28:29], -v[24:25]
	v_mul_f64 v[24:25], v[26:27], v[32:33]
	v_fma_f64 v[26:27], v[42:43], v[22:23], -v[24:25]
	v_add_f64 v[32:33], v[64:65], -v[16:17]
	v_fma_f64 v[22:23], v[54:55], s[0:1], 0
	v_fma_f64 v[16:17], v[56:57], s[0:1], 0
	;; [unrolled: 1-line block ×3, first 2 shown]
	v_add_f64 v[54:55], v[68:69], -v[20:21]
	v_add_f64 v[52:53], v[70:71], -v[12:13]
	v_mov_b64_e32 v[20:21], v[22:23]
	v_add_f64 v[56:57], v[32:33], -v[14:15]
	v_mov_b64_e32 v[32:33], v[16:17]
	v_fmac_f64_e32 v[20:21], 0x3fd00000, v[60:61]
	v_fma_f64 v[12:13], v[60:61], s[0:1], 0
	v_add_f64 v[60:61], v[52:53], -v[14:15]
	v_fmac_f64_e32 v[32:33], 0x3fd00000, v[58:59]
	v_fma_f64 v[14:15], v[58:59], s[0:1], 0
	v_add_f64 v[58:59], v[44:45], -v[10:11]
	v_lshl_add_u64 v[44:45], s[18:19], 0, v[8:9]
	global_load_dwordx2 v[44:45], v[44:45], off
	v_lshl_add_u64 v[52:53], s[12:13], 0, v[8:9]
	global_load_dwordx2 v[52:53], v[52:53], off
	;; [unrolled: 2-line block ×3, first 2 shown]
	v_add_f64 v[64:65], v[66:67], -v[18:19]
	v_mov_b64_e32 v[42:43], v[24:25]
	v_fmac_f64_e32 v[42:43], 0x3fd00000, v[62:63]
	v_fma_f64 v[18:19], v[62:63], s[0:1], 0
	v_add_f64 v[62:63], v[64:65], -v[6:7]
	v_add_f64 v[6:7], v[58:59], -v[6:7]
	;; [unrolled: 1-line block ×4, first 2 shown]
	v_mov_b64_e32 v[10:11], v[42:43]
	v_mov_b64_e32 v[58:59], v[18:19]
	v_mov_b64_e32 v[64:65], v[24:25]
	v_mul_f64 v[54:55], v[54:55], 0.5
	v_mul_f64 v[6:7], v[6:7], 0.5
	v_add_f64 v[0:1], v[40:41], -v[0:1]
	v_fmac_f64_e32 v[10:11], 0x3fd00000, v[50:51]
	v_fmac_f64_e32 v[58:59], 0x3fd00000, v[50:51]
	;; [unrolled: 1-line block ×3, first 2 shown]
	v_fma_f64 v[2:3], v[50:51], s[0:1], 0
	v_mul_f64 v[50:51], v[56:57], 0.5
	v_mul_f64 v[56:57], v[62:63], 0.5
	;; [unrolled: 1-line block ×4, first 2 shown]
	v_mul_f64 v[40:41], v[6:7], v[54:55]
	v_fma_f64 v[40:41], v[56:57], v[0:1], -v[40:41]
	v_mul_f64 v[0:1], v[50:51], v[0:1]
	v_mul_f64 v[56:57], v[60:61], v[56:57]
	v_fma_f64 v[0:1], v[60:61], v[54:55], -v[0:1]
	v_mov_b64_e32 v[54:55], v[20:21]
	v_mov_b64_e32 v[60:61], v[12:13]
	v_fma_f64 v[6:7], v[50:51], v[6:7], -v[56:57]
	v_mov_b64_e32 v[56:57], v[22:23]
	v_fmac_f64_e32 v[64:65], 0x3fd00000, v[38:39]
	v_fmac_f64_e32 v[2:3], 0x3fd00000, v[38:39]
	;; [unrolled: 1-line block ×3, first 2 shown]
	v_fma_f64 v[38:39], v[38:39], s[0:1], 0
	v_fma_f64 v[36:37], v[76:77], v[74:75], -v[36:37]
	v_fmac_f64_e32 v[54:55], 0x3fd00000, v[48:49]
	v_fmac_f64_e32 v[60:61], 0x3fd00000, v[48:49]
	v_fma_f64 v[50:51], v[48:49], s[0:1], 0
	v_fmac_f64_e32 v[56:57], 0x3fd00000, v[48:49]
	v_mov_b64_e32 v[48:49], v[32:33]
	v_fmac_f64_e32 v[24:25], 0x3fd00000, v[30:31]
	v_fmac_f64_e32 v[38:39], 0x3fd00000, v[30:31]
	;; [unrolled: 1-line block ×4, first 2 shown]
	v_mov_b64_e32 v[30:31], v[14:15]
	v_mov_b64_e32 v[62:63], v[16:17]
	v_fmac_f64_e32 v[48:49], 0x3fd00000, v[46:47]
	v_fmac_f64_e32 v[30:31], 0x3fd00000, v[46:47]
	;; [unrolled: 1-line block ×5, first 2 shown]
	v_fma_f64 v[36:37], v[36:37], s[0:1], 0
	v_fmac_f64_e32 v[62:63], 0x3fd00000, v[46:47]
	v_fma_f64 v[46:47], v[46:47], s[0:1], 0
	v_fmac_f64_e32 v[36:37], 0x3fd00000, v[28:29]
	v_fmac_f64_e32 v[12:13], 0x3fd00000, v[28:29]
	;; [unrolled: 1-line block ×5, first 2 shown]
	v_fma_f64 v[34:35], v[34:35], s[0:1], 0
	v_fmac_f64_e32 v[34:35], 0x3fd00000, v[26:27]
	v_fmac_f64_e32 v[14:15], 0x3fd00000, v[26:27]
	v_fmac_f64_e32 v[12:13], 0x3fd00000, v[0:1]
	v_fmac_f64_e32 v[36:37], 0x3fd00000, v[0:1]
	v_fmac_f64_e32 v[50:51], 0x3fd00000, v[0:1]
	v_fmac_f64_e32 v[60:61], 0x3fd00000, v[0:1]
	v_lshlrev_b64 v[0:1], 3, v[4:5]
	v_fmac_f64_e32 v[20:21], 0x3fd00000, v[28:29]
	v_fmac_f64_e32 v[18:19], 0x3fd00000, v[40:41]
	;; [unrolled: 1-line block ×9, first 2 shown]
	v_lshl_add_u64 v[40:41], s[4:5], 0, v[0:1]
	s_waitcnt vmcnt(2)
	v_mul_f64 v[4:5], v[44:45], -v[42:43]
	v_mul_f64 v[6:7], v[44:45], -v[10:11]
	v_lshl_add_u64 v[42:43], s[6:7], 0, v[0:1]
	global_store_dwordx4 v[40:41], v[4:7], off
	v_fmac_f64_e32 v[32:33], 0x3fd00000, v[26:27]
	v_fmac_f64_e32 v[22:23], 0x3fd00000, v[28:29]
	s_waitcnt vmcnt(2)
	v_mul_f64 v[4:5], v[52:53], -v[20:21]
	v_mul_f64 v[6:7], v[52:53], -v[54:55]
	global_store_dwordx4 v[42:43], v[4:7], off
	v_fmac_f64_e32 v[16:17], 0x3fd00000, v[26:27]
	v_lshl_add_u64 v[66:67], s[8:9], 0, v[0:1]
	v_mul_f64 v[4:5], v[44:45], -v[64:65]
	v_mul_f64 v[6:7], v[44:45], -v[24:25]
	s_waitcnt vmcnt(2)
	v_mul_f64 v[26:27], v[8:9], -v[32:33]
	v_mul_f64 v[28:29], v[8:9], -v[48:49]
	global_store_dwordx4 v[40:41], v[4:7], off offset:16
	v_mul_f64 v[10:11], v[52:53], -v[12:13]
	v_mul_f64 v[12:13], v[52:53], -v[60:61]
	;; [unrolled: 1-line block ×4, first 2 shown]
	global_store_dwordx4 v[66:67], v[26:29], off
	v_mul_f64 v[20:21], v[52:53], -v[56:57]
	v_mul_f64 v[22:23], v[52:53], -v[22:23]
	;; [unrolled: 1-line block ×5, first 2 shown]
	global_store_dwordx4 v[40:41], v[4:7], off offset:32
	global_store_dwordx4 v[42:43], v[10:13], off offset:32
	v_mul_f64 v[16:17], v[8:9], -v[30:31]
	v_mul_f64 v[0:1], v[44:45], -v[2:3]
	;; [unrolled: 1-line block ×7, first 2 shown]
	global_store_dwordx4 v[42:43], v[20:23], off offset:16
	global_store_dwordx4 v[66:67], v[26:29], off offset:16
	;; [unrolled: 1-line block ×6, first 2 shown]
.LBB1_2:
	s_endpgm
	.section	.rodata,"a",@progbits
	.p2align	6, 0x0
	.amdhsa_kernel _Z15integrateStressPdS_S_PKdS1_S1_PKiS1_S1_S1_S_i
		.amdhsa_group_segment_fixed_size 0
		.amdhsa_private_segment_fixed_size 0
		.amdhsa_kernarg_size 352
		.amdhsa_user_sgpr_count 2
		.amdhsa_user_sgpr_dispatch_ptr 0
		.amdhsa_user_sgpr_queue_ptr 0
		.amdhsa_user_sgpr_kernarg_segment_ptr 1
		.amdhsa_user_sgpr_dispatch_id 0
		.amdhsa_user_sgpr_kernarg_preload_length 0
		.amdhsa_user_sgpr_kernarg_preload_offset 0
		.amdhsa_user_sgpr_private_segment_size 0
		.amdhsa_uses_dynamic_stack 0
		.amdhsa_enable_private_segment 0
		.amdhsa_system_sgpr_workgroup_id_x 1
		.amdhsa_system_sgpr_workgroup_id_y 0
		.amdhsa_system_sgpr_workgroup_id_z 0
		.amdhsa_system_sgpr_workgroup_info 0
		.amdhsa_system_vgpr_workitem_id 0
		.amdhsa_next_free_vgpr 94
		.amdhsa_next_free_sgpr 20
		.amdhsa_accum_offset 96
		.amdhsa_reserve_vcc 1
		.amdhsa_float_round_mode_32 0
		.amdhsa_float_round_mode_16_64 0
		.amdhsa_float_denorm_mode_32 3
		.amdhsa_float_denorm_mode_16_64 3
		.amdhsa_dx10_clamp 1
		.amdhsa_ieee_mode 1
		.amdhsa_fp16_overflow 0
		.amdhsa_tg_split 0
		.amdhsa_exception_fp_ieee_invalid_op 0
		.amdhsa_exception_fp_denorm_src 0
		.amdhsa_exception_fp_ieee_div_zero 0
		.amdhsa_exception_fp_ieee_overflow 0
		.amdhsa_exception_fp_ieee_underflow 0
		.amdhsa_exception_fp_ieee_inexact 0
		.amdhsa_exception_int_div_zero 0
	.end_amdhsa_kernel
	.text
.Lfunc_end1:
	.size	_Z15integrateStressPdS_S_PKdS1_S1_PKiS1_S1_S1_S_i, .Lfunc_end1-_Z15integrateStressPdS_S_PKdS1_S1_PKiS1_S1_S1_S_i
                                        ; -- End function
	.set _Z15integrateStressPdS_S_PKdS1_S1_PKiS1_S1_S1_S_i.num_vgpr, 94
	.set _Z15integrateStressPdS_S_PKdS1_S1_PKiS1_S1_S1_S_i.num_agpr, 0
	.set _Z15integrateStressPdS_S_PKdS1_S1_PKiS1_S1_S1_S_i.numbered_sgpr, 20
	.set _Z15integrateStressPdS_S_PKdS1_S1_PKiS1_S1_S1_S_i.num_named_barrier, 0
	.set _Z15integrateStressPdS_S_PKdS1_S1_PKiS1_S1_S1_S_i.private_seg_size, 0
	.set _Z15integrateStressPdS_S_PKdS1_S1_PKiS1_S1_S1_S_i.uses_vcc, 1
	.set _Z15integrateStressPdS_S_PKdS1_S1_PKiS1_S1_S1_S_i.uses_flat_scratch, 0
	.set _Z15integrateStressPdS_S_PKdS1_S1_PKiS1_S1_S1_S_i.has_dyn_sized_stack, 0
	.set _Z15integrateStressPdS_S_PKdS1_S1_PKiS1_S1_S1_S_i.has_recursion, 0
	.set _Z15integrateStressPdS_S_PKdS1_S1_PKiS1_S1_S1_S_i.has_indirect_call, 0
	.section	.AMDGPU.csdata,"",@progbits
; Kernel info:
; codeLenInByte = 3464
; TotalNumSgprs: 26
; NumVgprs: 94
; NumAgprs: 0
; TotalNumVgprs: 94
; ScratchSize: 0
; MemoryBound: 0
; FloatMode: 240
; IeeeMode: 1
; LDSByteSize: 0 bytes/workgroup (compile time only)
; SGPRBlocks: 3
; VGPRBlocks: 11
; NumSGPRsForWavesPerEU: 26
; NumVGPRsForWavesPerEU: 94
; AccumOffset: 96
; Occupancy: 5
; WaveLimiterHint : 0
; COMPUTE_PGM_RSRC2:SCRATCH_EN: 0
; COMPUTE_PGM_RSRC2:USER_SGPR: 2
; COMPUTE_PGM_RSRC2:TRAP_HANDLER: 0
; COMPUTE_PGM_RSRC2:TGID_X_EN: 1
; COMPUTE_PGM_RSRC2:TGID_Y_EN: 0
; COMPUTE_PGM_RSRC2:TGID_Z_EN: 0
; COMPUTE_PGM_RSRC2:TIDIG_COMP_CNT: 0
; COMPUTE_PGM_RSRC3_GFX90A:ACCUM_OFFSET: 23
; COMPUTE_PGM_RSRC3_GFX90A:TG_SPLIT: 0
	.text
	.protected	_Z15acc_final_forcePKdS0_S0_PdS1_S1_PKiS3_i ; -- Begin function _Z15acc_final_forcePKdS0_S0_PdS1_S1_PKiS3_i
	.globl	_Z15acc_final_forcePKdS0_S0_PdS1_S1_PKiS3_i
	.p2align	8
	.type	_Z15acc_final_forcePKdS0_S0_PdS1_S1_PKiS3_i,@function
_Z15acc_final_forcePKdS0_S0_PdS1_S1_PKiS3_i: ; @_Z15acc_final_forcePKdS0_S0_PdS1_S1_PKiS3_i
; %bb.0:
	s_load_dword s3, s[0:1], 0x54
	s_load_dword s4, s[0:1], 0x40
	s_waitcnt lgkmcnt(0)
	s_and_b32 s3, s3, 0xffff
	s_mul_i32 s2, s2, s3
	v_add_u32_e32 v0, s2, v0
	v_cmp_gt_i32_e32 vcc, s4, v0
	s_and_saveexec_b64 s[2:3], vcc
	s_cbranch_execz .LBB2_6
; %bb.1:
	s_load_dwordx2 s[2:3], s[0:1], 0x30
	v_ashrrev_i32_e32 v1, 31, v0
	s_mov_b32 s12, 0
	v_mov_b64_e32 v[4:5], 0
	v_mov_b64_e32 v[6:7], 0
	s_waitcnt lgkmcnt(0)
	v_lshl_add_u64 v[2:3], v[0:1], 2, s[2:3]
	global_load_dwordx2 v[8:9], v[2:3], off
	v_mov_b64_e32 v[2:3], 0
	s_waitcnt vmcnt(0)
	v_sub_u32_e32 v10, v9, v8
	v_cmp_lt_i32_e32 vcc, 0, v10
	s_and_saveexec_b64 s[2:3], vcc
	s_cbranch_execz .LBB2_5
; %bb.2:
	s_load_dwordx2 s[10:11], s[0:1], 0x38
	s_load_dwordx4 s[4:7], s[0:1], 0x0
	s_load_dwordx2 s[8:9], s[0:1], 0x10
	v_ashrrev_i32_e32 v9, 31, v8
	v_mov_b64_e32 v[2:3], 0
	s_waitcnt lgkmcnt(0)
	v_lshl_add_u64 v[8:9], v[8:9], 2, s[10:11]
	s_mov_b64 s[10:11], 0
	v_mov_b64_e32 v[4:5], 0
	v_mov_b64_e32 v[6:7], 0
.LBB2_3:                                ; =>This Inner Loop Header: Depth=1
	global_load_dword v12, v[8:9], off
	s_add_i32 s12, s12, 1
	v_cmp_ge_i32_e32 vcc, s12, v10
	v_lshl_add_u64 v[8:9], v[8:9], 0, 4
	s_or_b64 s[10:11], vcc, s[10:11]
	s_waitcnt vmcnt(0)
	v_ashrrev_i32_e32 v13, 31, v12
	v_lshlrev_b64 v[12:13], 3, v[12:13]
	v_lshl_add_u64 v[14:15], s[4:5], 0, v[12:13]
	v_lshl_add_u64 v[16:17], s[6:7], 0, v[12:13]
	;; [unrolled: 1-line block ×3, first 2 shown]
	global_load_dwordx2 v[18:19], v[14:15], off
	global_load_dwordx2 v[20:21], v[16:17], off
	;; [unrolled: 1-line block ×3, first 2 shown]
	s_waitcnt vmcnt(2)
	v_add_f64 v[6:7], v[6:7], v[18:19]
	s_waitcnt vmcnt(1)
	v_add_f64 v[4:5], v[4:5], v[20:21]
	s_waitcnt vmcnt(0)
	v_add_f64 v[2:3], v[2:3], v[22:23]
	s_andn2_b64 exec, exec, s[10:11]
	s_cbranch_execnz .LBB2_3
; %bb.4:
	s_or_b64 exec, exec, s[10:11]
.LBB2_5:
	s_or_b64 exec, exec, s[2:3]
	s_load_dwordx4 s[4:7], s[0:1], 0x18
	s_load_dwordx2 s[2:3], s[0:1], 0x28
	v_lshlrev_b64 v[0:1], 3, v[0:1]
	s_waitcnt lgkmcnt(0)
	v_lshl_add_u64 v[8:9], s[4:5], 0, v[0:1]
	global_store_dwordx2 v[8:9], v[6:7], off
	v_lshl_add_u64 v[6:7], s[6:7], 0, v[0:1]
	v_lshl_add_u64 v[0:1], s[2:3], 0, v[0:1]
	global_store_dwordx2 v[6:7], v[4:5], off
	global_store_dwordx2 v[0:1], v[2:3], off
.LBB2_6:
	s_endpgm
	.section	.rodata,"a",@progbits
	.p2align	6, 0x0
	.amdhsa_kernel _Z15acc_final_forcePKdS0_S0_PdS1_S1_PKiS3_i
		.amdhsa_group_segment_fixed_size 0
		.amdhsa_private_segment_fixed_size 0
		.amdhsa_kernarg_size 328
		.amdhsa_user_sgpr_count 2
		.amdhsa_user_sgpr_dispatch_ptr 0
		.amdhsa_user_sgpr_queue_ptr 0
		.amdhsa_user_sgpr_kernarg_segment_ptr 1
		.amdhsa_user_sgpr_dispatch_id 0
		.amdhsa_user_sgpr_kernarg_preload_length 0
		.amdhsa_user_sgpr_kernarg_preload_offset 0
		.amdhsa_user_sgpr_private_segment_size 0
		.amdhsa_uses_dynamic_stack 0
		.amdhsa_enable_private_segment 0
		.amdhsa_system_sgpr_workgroup_id_x 1
		.amdhsa_system_sgpr_workgroup_id_y 0
		.amdhsa_system_sgpr_workgroup_id_z 0
		.amdhsa_system_sgpr_workgroup_info 0
		.amdhsa_system_vgpr_workitem_id 0
		.amdhsa_next_free_vgpr 24
		.amdhsa_next_free_sgpr 13
		.amdhsa_accum_offset 24
		.amdhsa_reserve_vcc 1
		.amdhsa_float_round_mode_32 0
		.amdhsa_float_round_mode_16_64 0
		.amdhsa_float_denorm_mode_32 3
		.amdhsa_float_denorm_mode_16_64 3
		.amdhsa_dx10_clamp 1
		.amdhsa_ieee_mode 1
		.amdhsa_fp16_overflow 0
		.amdhsa_tg_split 0
		.amdhsa_exception_fp_ieee_invalid_op 0
		.amdhsa_exception_fp_denorm_src 0
		.amdhsa_exception_fp_ieee_div_zero 0
		.amdhsa_exception_fp_ieee_overflow 0
		.amdhsa_exception_fp_ieee_underflow 0
		.amdhsa_exception_fp_ieee_inexact 0
		.amdhsa_exception_int_div_zero 0
	.end_amdhsa_kernel
	.text
.Lfunc_end2:
	.size	_Z15acc_final_forcePKdS0_S0_PdS1_S1_PKiS3_i, .Lfunc_end2-_Z15acc_final_forcePKdS0_S0_PdS1_S1_PKiS3_i
                                        ; -- End function
	.set _Z15acc_final_forcePKdS0_S0_PdS1_S1_PKiS3_i.num_vgpr, 24
	.set _Z15acc_final_forcePKdS0_S0_PdS1_S1_PKiS3_i.num_agpr, 0
	.set _Z15acc_final_forcePKdS0_S0_PdS1_S1_PKiS3_i.numbered_sgpr, 13
	.set _Z15acc_final_forcePKdS0_S0_PdS1_S1_PKiS3_i.num_named_barrier, 0
	.set _Z15acc_final_forcePKdS0_S0_PdS1_S1_PKiS3_i.private_seg_size, 0
	.set _Z15acc_final_forcePKdS0_S0_PdS1_S1_PKiS3_i.uses_vcc, 1
	.set _Z15acc_final_forcePKdS0_S0_PdS1_S1_PKiS3_i.uses_flat_scratch, 0
	.set _Z15acc_final_forcePKdS0_S0_PdS1_S1_PKiS3_i.has_dyn_sized_stack, 0
	.set _Z15acc_final_forcePKdS0_S0_PdS1_S1_PKiS3_i.has_recursion, 0
	.set _Z15acc_final_forcePKdS0_S0_PdS1_S1_PKiS3_i.has_indirect_call, 0
	.section	.AMDGPU.csdata,"",@progbits
; Kernel info:
; codeLenInByte = 396
; TotalNumSgprs: 19
; NumVgprs: 24
; NumAgprs: 0
; TotalNumVgprs: 24
; ScratchSize: 0
; MemoryBound: 0
; FloatMode: 240
; IeeeMode: 1
; LDSByteSize: 0 bytes/workgroup (compile time only)
; SGPRBlocks: 2
; VGPRBlocks: 2
; NumSGPRsForWavesPerEU: 19
; NumVGPRsForWavesPerEU: 24
; AccumOffset: 24
; Occupancy: 8
; WaveLimiterHint : 1
; COMPUTE_PGM_RSRC2:SCRATCH_EN: 0
; COMPUTE_PGM_RSRC2:USER_SGPR: 2
; COMPUTE_PGM_RSRC2:TRAP_HANDLER: 0
; COMPUTE_PGM_RSRC2:TGID_X_EN: 1
; COMPUTE_PGM_RSRC2:TGID_Y_EN: 0
; COMPUTE_PGM_RSRC2:TGID_Z_EN: 0
; COMPUTE_PGM_RSRC2:TIDIG_COMP_CNT: 0
; COMPUTE_PGM_RSRC3_GFX90A:ACCUM_OFFSET: 5
; COMPUTE_PGM_RSRC3_GFX90A:TG_SPLIT: 0
	.text
	.protected	_Z3hgcPdS_S_S_S_S_S_PKdS1_S1_PKiS1_S1_Pii ; -- Begin function _Z3hgcPdS_S_S_S_S_S_PKdS1_S1_PKiS1_S1_Pii
	.globl	_Z3hgcPdS_S_S_S_S_S_PKdS1_S1_PKiS1_S1_Pii
	.p2align	8
	.type	_Z3hgcPdS_S_S_S_S_S_PKdS1_S1_PKiS1_S1_Pii,@function
_Z3hgcPdS_S_S_S_S_S_PKdS1_S1_PKiS1_S1_Pii: ; @_Z3hgcPdS_S_S_S_S_S_PKdS1_S1_PKiS1_S1_Pii
; %bb.0:
	s_load_dword s3, s[0:1], 0x84
	s_load_dword s4, s[0:1], 0x70
	s_waitcnt lgkmcnt(0)
	s_and_b32 s3, s3, 0xffff
	s_mul_i32 s2, s2, s3
	v_add_u32_e32 v48, s2, v0
	v_cmp_gt_i32_e32 vcc, s4, v48
	s_and_saveexec_b64 s[2:3], vcc
	s_cbranch_execz .LBB3_3
; %bb.1:
	s_load_dwordx8 s[12:19], s[0:1], 0x40
	v_lshlrev_b32_e32 v0, 3, v48
	v_ashrrev_i32_e32 v1, 31, v0
	scratch_store_dwordx2 off, v[0:1], off  ; 8-byte Folded Spill
	s_load_dwordx8 s[4:11], s[0:1], 0x20
	s_waitcnt lgkmcnt(0)
	v_lshl_add_u64 v[8:9], v[0:1], 2, s[16:17]
	global_load_dwordx4 v[0:3], v[8:9], off
	global_load_dwordx4 v[4:7], v[8:9], off offset:16
	s_load_dwordx2 s[2:3], s[0:1], 0x60
	s_waitcnt vmcnt(1)
	v_ashrrev_i32_e32 v9, 31, v0
	v_mov_b32_e32 v8, v0
	v_ashrrev_i32_e32 v11, 31, v1
	v_mov_b32_e32 v10, v1
	v_ashrrev_i32_e32 v1, 31, v2
	v_mov_b32_e32 v0, v2
	v_ashrrev_i32_e32 v13, 31, v3
	v_mov_b32_e32 v12, v3
	s_waitcnt vmcnt(0)
	v_ashrrev_i32_e32 v3, 31, v4
	v_mov_b32_e32 v2, v4
	v_ashrrev_i32_e32 v15, 31, v5
	v_mov_b32_e32 v14, v5
	v_ashrrev_i32_e32 v5, 31, v6
	v_mov_b32_e32 v4, v6
	v_ashrrev_i32_e32 v17, 31, v7
	v_mov_b32_e32 v16, v7
	v_lshlrev_b64 v[6:7], 3, v[8:9]
	v_lshlrev_b64 v[8:9], 3, v[10:11]
	v_lshlrev_b64 v[0:1], 3, v[0:1]
	v_lshlrev_b64 v[10:11], 3, v[12:13]
	v_lshlrev_b64 v[2:3], 3, v[2:3]
	v_lshlrev_b64 v[12:13], 3, v[16:17]
	v_lshl_add_u64 v[16:17], s[10:11], 0, v[6:7]
	v_lshl_add_u64 v[24:25], s[12:13], 0, v[6:7]
	;; [unrolled: 1-line block ×12, first 2 shown]
	global_load_dwordx2 v[0:1], v[6:7], off
	global_load_dwordx2 v[2:3], v[8:9], off
	v_lshlrev_b64 v[42:43], 3, v[14:15]
	v_lshlrev_b64 v[4:5], 3, v[4:5]
	v_lshl_add_u64 v[22:23], s[10:11], 0, v[10:11]
	v_lshl_add_u64 v[30:31], s[12:13], 0, v[10:11]
	;; [unrolled: 1-line block ×12, first 2 shown]
	s_waitcnt vmcnt(0)
	v_mov_b64_e32 v[74:75], v[2:3]
	v_mov_b64_e32 v[72:73], v[0:1]
	global_load_dwordx2 v[12:13], v[32:33], off
	global_load_dwordx2 v[14:15], v[10:11], off
	;; [unrolled: 1-line block ×4, first 2 shown]
                                        ; kill: killed $vgpr10_vgpr11
                                        ; kill: killed $vgpr26_vgpr27
                                        ; kill: killed $vgpr32_vgpr33
                                        ; kill: killed $vgpr24_vgpr25
                                        ; kill: killed $vgpr8_vgpr9
                                        ; kill: killed $vgpr6_vgpr7
	s_nop 0
	global_load_dwordx2 v[24:25], v[28:29], off
	global_load_dwordx2 v[26:27], v[30:31], off
	;; [unrolled: 1-line block ×6, first 2 shown]
                                        ; kill: killed $vgpr16_vgpr17
                                        ; kill: killed $vgpr22_vgpr23
                                        ; kill: killed $vgpr18_vgpr19
                                        ; kill: killed $vgpr30_vgpr31
                                        ; kill: killed $vgpr28_vgpr29
                                        ; kill: killed $vgpr20_vgpr21
	global_load_dwordx2 v[0:1], v[60:61], off
	global_load_dwordx2 v[2:3], v[62:63], off
	;; [unrolled: 1-line block ×6, first 2 shown]
                                        ; kill: killed $vgpr60_vgpr61
                                        ; kill: killed $vgpr54_vgpr55
                                        ; kill: killed $vgpr58_vgpr59
                                        ; kill: killed $vgpr52_vgpr53
                                        ; kill: killed $vgpr62_vgpr63
                                        ; kill: killed $vgpr40_vgpr41
	global_load_dwordx2 v[20:21], v[56:57], off
	s_nop 0
	global_load_dwordx2 v[40:41], v[64:65], off
	global_load_dwordx2 v[30:31], v[68:69], off
	;; [unrolled: 1-line block ×4, first 2 shown]
	v_mov_b64_e32 v[8:9], v[72:73]
	global_load_dwordx2 v[42:43], v[42:43], off
	v_add_f64 v[70:71], v[72:73], v[74:75]
	v_mov_b64_e32 v[10:11], v[74:75]
	v_mov_b32_e32 v52, v48
	scratch_store_dwordx4 off, v[8:11], off offset:72 ; 16-byte Folded Spill
	s_waitcnt vmcnt(22)
	v_add_f64 v[78:79], v[74:75], v[12:13]
	s_waitcnt vmcnt(21)
	v_add_f64 v[16:17], v[8:9], v[14:15]
	;; [unrolled: 2-line block ×3, first 2 shown]
	v_mul_f64 v[64:65], v[76:77], v[78:79]
	s_waitcnt vmcnt(18)
	v_add_f64 v[68:69], v[38:39], v[24:25]
	s_waitcnt vmcnt(17)
	v_add_f64 v[50:51], v[36:37], v[26:27]
	v_fma_f64 v[64:65], v[68:69], v[70:71], -v[64:65]
	s_waitcnt vmcnt(15)
	v_add_f64 v[72:73], v[44:45], v[46:47]
	s_waitcnt vmcnt(14)
	v_add_f64 v[82:83], v[46:47], v[32:33]
	;; [unrolled: 2-line block ×3, first 2 shown]
	v_mul_f64 v[86:87], v[82:83], v[70:71]
	v_fma_f64 v[86:87], v[72:73], v[78:79], -v[86:87]
	s_waitcnt vmcnt(12)
	v_add_f64 v[124:125], v[12:13], v[0:1]
	s_waitcnt vmcnt(11)
	v_add_f64 v[66:67], v[0:1], v[2:3]
	scratch_store_dwordx4 off, v[0:3], off offset:24 ; 16-byte Folded Spill
	s_waitcnt vmcnt(10)
	v_add_f64 v[84:85], v[92:93], v[4:5]
	s_waitcnt vmcnt(9)
	v_add_f64 v[74:75], v[4:5], v[6:7]
	;; [unrolled: 2-line block ×3, first 2 shown]
	v_add_f64 v[120:121], v[14:15], v[2:3]
	v_add_f64 v[110:111], v[26:27], v[6:7]
	;; [unrolled: 1-line block ×3, first 2 shown]
	v_mul_f64 v[94:95], v[74:75], v[88:89]
	v_fma_f64 v[94:95], v[84:85], v[66:67], -v[94:95]
	v_fmac_f64_e32 v[94:95], v[110:111], v[16:17]
	s_waitcnt vmcnt(7)
	v_add_f64 v[98:99], v[20:21], v[2:3]
	s_waitcnt vmcnt(6)
	v_add_f64 v[54:55], v[44:45], v[40:41]
	;; [unrolled: 2-line block ×4, first 2 shown]
	s_waitcnt vmcnt(3)
	v_mov_b64_e32 v[56:57], v[90:91]
	v_mov_b64_e32 v[58:59], v[92:93]
	v_mul_f64 v[92:93], v[72:73], v[16:17]
	v_add_f64 v[60:61], v[36:37], v[56:57]
	v_add_f64 v[118:119], v[34:35], v[30:31]
	v_mul_f64 v[102:103], v[80:81], v[98:99]
	v_fma_f64 v[92:93], v[18:19], v[70:71], -v[92:93]
	v_add_f64 v[100:101], v[56:57], v[6:7]
	v_add_f64 v[62:63], v[8:9], v[20:21]
	s_waitcnt vmcnt(2)
	v_add_f64 v[116:117], v[42:43], v[28:29]
	v_mul_f64 v[90:91], v[50:51], v[70:71]
	v_fma_f64 v[102:103], v[96:97], v[66:67], -v[102:103]
	v_fmac_f64_e32 v[64:65], v[60:61], v[98:99]
	v_fma_f64 v[86:87], -v[54:55], v[98:99], v[86:87]
	v_fma_f64 v[126:127], -v[118:119], v[66:67], v[92:93]
	v_mul_f64 v[92:93], v[72:73], v[68:69]
	v_mov_b64_e32 v[2:3], v[54:55]
	v_add_f64 v[112:113], v[32:33], v[28:29]
	v_mul_f64 v[104:105], v[116:117], v[66:67]
	v_fma_f64 v[90:91], v[76:77], v[16:17], -v[90:91]
	v_fma_f64 v[64:65], -v[100:101], v[62:63], v[64:65]
	v_fmac_f64_e32 v[86:87], v[96:97], v[62:63]
	v_fma_f64 v[48:49], -v[54:55], v[70:71], v[102:103]
	v_mov_b64_e32 v[54:55], v[50:51]
	v_fma_f64 v[92:93], v[82:83], v[76:77], -v[92:93]
	v_mov_b64_e32 v[50:51], v[2:3]
	v_mul_f64 v[2:3], v[80:81], v[84:85]
	v_mul_f64 v[108:109], v[100:101], v[66:67]
	v_fmac_f64_e32 v[90:91], v[110:111], v[66:67]
	v_fma_f64 v[64:65], -v[114:115], v[66:67], v[64:65]
	v_fmac_f64_e32 v[86:87], v[112:113], v[66:67]
	v_fma_f64 v[66:67], v[80:81], v[88:89], -v[104:105]
	v_fma_f64 v[92:93], -v[96:97], v[60:61], v[92:93]
	v_fma_f64 v[2:3], v[116:117], v[74:75], -v[2:3]
	v_fma_f64 v[104:105], v[74:75], v[98:99], -v[108:109]
	v_fma_f64 v[108:109], -v[118:119], v[16:17], v[66:67]
	v_fmac_f64_e32 v[92:93], v[50:51], v[100:101]
	v_fma_f64 v[2:3], -v[18:19], v[110:111], v[2:3]
	v_add_f64 v[106:107], v[38:39], v[58:59]
	v_add_f64 v[122:123], v[46:47], v[42:43]
	v_fma_f64 v[66:67], -v[54:55], v[120:121], v[94:95]
	v_fmac_f64_e32 v[108:109], v[18:19], v[120:121]
	v_mul_f64 v[94:95], v[96:97], v[74:75]
	v_fmac_f64_e32 v[92:93], v[80:81], v[114:115]
	v_fma_f64 v[0:1], -v[80:81], v[124:125], v[86:87]
	v_fmac_f64_e32 v[2:3], v[118:119], v[54:55]
	scratch_store_dwordx4 off, v[4:7], off offset:8 ; 16-byte Folded Spill
	v_fmac_f64_e32 v[108:109], v[122:123], v[70:71]
	v_fma_f64 v[94:95], v[80:81], v[100:101], -v[94:95]
	scratch_store_dwordx2 off, v[0:1], off offset:40 ; 8-byte Folded Spill
	v_fma_f64 v[0:1], -v[112:113], v[74:75], v[92:93]
	v_fmac_f64_e32 v[2:3], v[72:73], v[106:107]
	v_add_f64 v[6:7], v[10:11], v[22:23]
	scratch_store_dwordx2 off, v[0:1], off offset:56 ; 8-byte Folded Spill
	v_fma_f64 v[0:1], -v[72:73], v[60:61], v[94:95]
	v_fma_f64 v[8:9], -v[72:73], v[6:7], v[108:109]
	v_fma_f64 v[2:3], -v[122:123], v[76:77], v[2:3]
	v_add_f64 v[108:109], v[12:13], v[14:15]
	scratch_store_dwordx2 off, v[8:9], off offset:48 ; 8-byte Folded Spill
	v_fmac_f64_e32 v[0:1], v[50:51], v[76:77]
	scratch_store_dwordx2 off, v[2:3], off offset:64 ; 8-byte Folded Spill
	v_add_f64 v[8:9], v[24:25], v[26:27]
	v_mul_f64 v[50:51], v[68:69], v[108:109]
	v_add_f64 v[2:3], v[32:33], v[34:35]
	v_fma_f64 v[50:51], v[8:9], v[78:79], -v[50:51]
	v_add_f64 v[92:93], v[20:21], v[22:23]
	v_mul_f64 v[10:11], v[2:3], v[78:79]
	v_fma_f64 v[102:103], -v[74:75], v[120:121], v[90:91]
	v_fmac_f64_e32 v[50:51], v[106:107], v[92:93]
	v_add_f64 v[90:91], v[56:57], v[58:59]
	v_fma_f64 v[10:11], v[82:83], v[108:109], -v[10:11]
	v_fma_f64 v[50:51], -v[90:91], v[6:7], v[50:51]
	v_fma_f64 v[10:11], -v[122:123], v[92:93], v[10:11]
	v_add_f64 v[94:95], v[40:41], v[42:43]
	v_fmac_f64_e32 v[104:105], v[60:61], v[70:71]
	v_fma_f64 v[66:67], -v[106:107], v[70:71], v[66:67]
	v_mul_f64 v[70:71], v[18:19], v[76:77]
	v_fma_f64 v[86:87], -v[110:111], v[98:99], v[50:51]
	v_fmac_f64_e32 v[10:11], v[94:95], v[6:7]
	v_mul_f64 v[50:51], v[96:97], v[92:93]
	v_fma_f64 v[70:71], v[72:73], v[54:55], -v[70:71]
	v_fmac_f64_e32 v[10:11], v[118:119], v[98:99]
	v_fma_f64 v[50:51], v[94:95], v[98:99], -v[50:51]
	v_mul_f64 v[98:99], v[90:91], v[98:99]
	v_fma_f64 v[4:5], -v[80:81], v[110:111], v[70:71]
	v_fmac_f64_e32 v[126:127], v[80:81], v[120:121]
	v_fmac_f64_e32 v[48:49], v[72:73], v[62:63]
	v_fma_f64 v[80:81], -v[76:77], v[62:63], v[104:105]
	v_fma_f64 v[98:99], v[100:101], v[92:93], -v[98:99]
	v_fma_f64 v[80:81], -v[114:115], v[78:79], v[80:81]
	v_fmac_f64_e32 v[48:49], v[112:113], v[78:79]
	v_fmac_f64_e32 v[98:99], v[106:107], v[78:79]
	v_fma_f64 v[78:79], -v[122:123], v[78:79], v[50:51]
	v_fma_f64 v[50:51], -v[96:97], v[120:121], v[10:11]
	v_mul_f64 v[10:11], v[82:83], v[8:9]
	v_fma_f64 v[10:11], v[2:3], v[68:69], -v[10:11]
	v_fma_f64 v[10:11], -v[94:95], v[106:107], v[10:11]
	v_fmac_f64_e32 v[10:11], v[122:123], v[90:91]
	v_fmac_f64_e32 v[10:11], v[96:97], v[110:111]
	v_fma_f64 v[104:105], -v[118:119], v[100:101], v[10:11]
	v_mul_f64 v[10:11], v[94:95], v[100:101]
	v_fma_f64 v[10:11], v[96:97], v[90:91], -v[10:11]
	v_fmac_f64_e32 v[86:87], v[100:101], v[120:121]
	v_fma_f64 v[100:101], -v[106:107], v[88:89], v[102:103]
	v_fma_f64 v[102:103], -v[82:83], v[106:107], v[10:11]
	v_fmac_f64_e32 v[0:1], v[82:83], v[114:115]
	v_fmac_f64_e32 v[126:127], v[122:123], v[88:89]
	v_fmac_f64_e32 v[4:5], v[118:119], v[74:75]
	v_fmac_f64_e32 v[66:67], v[76:77], v[6:7]
	v_fma_f64 v[10:11], -v[82:83], v[124:125], v[48:49]
	v_fmac_f64_e32 v[78:79], v[82:83], v[6:7]
	v_fmac_f64_e32 v[100:101], v[84:85], v[6:7]
	v_fma_f64 v[48:49], -v[116:117], v[6:7], v[126:127]
	v_fma_f64 v[6:7], -v[68:69], v[6:7], v[98:99]
	v_fmac_f64_e32 v[102:103], v[122:123], v[68:69]
	v_fmac_f64_e32 v[80:81], v[68:69], v[124:125]
	v_fma_f64 v[68:69], -v[112:113], v[68:69], v[0:1]
	v_mul_f64 v[0:1], v[8:9], v[16:17]
	v_fmac_f64_e32 v[4:5], v[116:117], v[106:107]
	v_fma_f64 v[0:1], v[54:55], v[108:109], -v[0:1]
	v_fma_f64 v[106:107], -v[122:123], v[84:85], v[4:5]
	v_fma_f64 v[82:83], -v[110:111], v[108:109], v[6:7]
	v_fmac_f64_e32 v[78:79], v[118:119], v[108:109]
	v_fmac_f64_e32 v[0:1], v[114:115], v[88:89]
	v_mul_f64 v[4:5], v[18:19], v[108:109]
	v_fmac_f64_e32 v[82:83], v[8:9], v[120:121]
	v_fma_f64 v[96:97], -v[2:3], v[120:121], v[78:79]
	v_fma_f64 v[4:5], v[2:3], v[16:17], -v[4:5]
	v_fma_f64 v[120:121], -v[84:85], v[124:125], v[0:1]
	v_mul_f64 v[0:1], v[2:3], v[54:55]
	v_fmac_f64_e32 v[102:103], v[2:3], v[110:111]
	v_fma_f64 v[110:111], -v[112:113], v[88:89], v[4:5]
	v_mul_f64 v[4:5], v[84:85], v[92:93]
	v_fma_f64 v[0:1], v[18:19], v[8:9], -v[0:1]
	v_fma_f64 v[98:99], -v[118:119], v[8:9], v[102:103]
	v_mov_b32_e32 v102, v52
	v_fma_f64 v[4:5], v[90:91], v[88:89], -v[4:5]
	v_fma_f64 v[118:119], -v[116:117], v[114:115], v[0:1]
	v_mul_f64 v[0:1], v[116:117], v[90:91]
	v_fmac_f64_e32 v[4:5], v[114:115], v[108:109]
	v_fma_f64 v[0:1], v[94:95], v[84:85], -v[0:1]
	v_ashrrev_i32_e32 v103, 31, v102
	v_mul_f64 v[6:7], v[94:95], v[88:89]
	v_fmac_f64_e32 v[118:119], v[112:113], v[84:85]
	v_fma_f64 v[84:85], -v[2:3], v[114:115], v[0:1]
	v_fma_f64 v[114:115], -v[8:9], v[124:125], v[4:5]
	v_lshlrev_b64 v[4:5], 3, v[102:103]
	v_fma_f64 v[6:7], v[116:117], v[92:93], -v[6:7]
	v_lshl_add_u64 v[0:1], s[18:19], 0, v[4:5]
	v_mov_b64_e32 v[72:73], v[14:15]
	v_fma_f64 v[88:89], -v[112:113], v[108:109], v[6:7]
	global_load_dwordx2 v[6:7], v[0:1], off
	s_waitcnt lgkmcnt(0)
	v_lshl_add_u64 v[0:1], s[2:3], 0, v[4:5]
	v_mov_b64_e32 v[70:71], v[12:13]
	v_fmac_f64_e32 v[84:85], v[112:113], v[8:9]
	global_load_dwordx2 v[8:9], v[0:1], off
	v_fma_f64 v[0:1], -v[60:61], v[92:93], v[120:121]
	v_add_f64 v[14:15], v[44:45], v[40:41]
	v_fmac_f64_e32 v[118:119], v[94:95], v[60:61]
	s_mov_b32 s2, 0x55555555
	v_fmac_f64_e32 v[64:65], v[74:75], v[124:125]
	v_mov_b64_e32 v[76:77], v[58:59]
	v_fmac_f64_e32 v[0:1], v[90:91], v[62:63]
	v_fma_f64 v[78:79], -v[14:15], v[90:91], v[118:119]
	v_fma_f64 v[90:91], -v[60:61], v[16:17], v[114:115]
	v_fmac_f64_e32 v[84:85], v[18:19], v[60:61]
	s_mov_b32 s3, 0x3fb55555
	v_mov_b64_e32 v[74:75], v[56:57]
	v_fmac_f64_e32 v[90:91], v[54:55], v[62:63]
	v_fma_f64 v[58:59], -v[14:15], v[54:55], v[84:85]
	v_mul_f64 v[54:55], v[0:1], s[2:3]
	scratch_load_dwordx2 v[0:1], off, off   ; 8-byte Folded Reload
	s_load_dwordx8 s[12:19], s[0:1], 0x0
	v_fmac_f64_e32 v[110:111], v[116:117], v[124:125]
	v_fmac_f64_e32 v[110:111], v[14:15], v[92:93]
	;; [unrolled: 1-line block ×3, first 2 shown]
	v_fma_f64 v[2:3], -v[94:95], v[62:63], v[110:111]
	v_mul_f64 v[52:53], v[86:87], s[2:3]
	v_fmac_f64_e32 v[88:89], v[14:15], v[16:17]
	v_mul_f64 v[50:51], v[50:51], s[2:3]
	v_fma_f64 v[56:57], -v[18:19], v[62:63], v[88:89]
	v_mul_f64 v[14:15], v[64:65], s[2:3]
	v_mul_f64 v[12:13], v[100:101], s[2:3]
	s_waitcnt vmcnt(1)
	v_cmp_ge_f64_e32 vcc, 0, v[8:9]
	s_waitcnt vmcnt(0)
	v_lshlrev_b64 v[0:1], 3, v[0:1]
	s_waitcnt lgkmcnt(0)
	v_lshl_add_u64 v[60:61], s[12:13], 0, v[0:1]
	global_store_dwordx4 v[60:61], v[52:55], off
	v_lshl_add_u64 v[62:63], s[16:17], 0, v[0:1]
	global_store_dwordx4 v[60:61], v[12:15], off offset:16
	v_mul_f64 v[52:53], v[2:3], s[2:3]
	v_lshl_add_u64 v[54:55], s[14:15], 0, v[0:1]
	global_store_dwordx4 v[54:55], v[50:53], off
	v_mul_f64 v[12:13], v[48:49], s[2:3]
	s_nop 0
	v_mul_f64 v[50:51], v[104:105], s[2:3]
	v_mul_f64 v[52:53], v[78:79], s[2:3]
	global_store_dwordx4 v[62:63], v[50:53], off
	s_nop 1
	v_lshl_add_u64 v[50:51], s[18:19], 0, v[0:1]
	global_store_dwordx4 v[50:51], v[44:47], off
	s_nop 1
	v_lshl_add_u64 v[44:45], s[4:5], 0, v[0:1]
	v_lshl_add_u64 v[46:47], s[6:7], 0, v[0:1]
	scratch_load_dwordx4 v[0:3], off, off offset:72 ; 16-byte Folded Reload
	s_nop 0
	global_store_dwordx4 v[44:45], v[36:39], off
	s_waitcnt vmcnt(1)
	global_store_dwordx4 v[46:47], v[0:3], off
	scratch_load_dwordx2 v[0:1], off, off offset:40 ; 8-byte Folded Reload
	s_nop 0
	v_mul_f64 v[2:3], v[80:81], s[2:3]
	v_mul_f64 v[36:37], v[98:99], s[2:3]
	;; [unrolled: 1-line block ×3, first 2 shown]
	s_waitcnt vmcnt(0)
	v_mul_f64 v[14:15], v[0:1], s[2:3]
	scratch_load_dwordx2 v[0:1], off, off offset:56 ; 8-byte Folded Reload
	s_nop 0
	global_store_dwordx4 v[54:55], v[12:15], off offset:16
	s_nop 1
	v_mul_f64 v[12:13], v[106:107], s[2:3]
	s_waitcnt vmcnt(1)
	v_mul_f64 v[14:15], v[0:1], s[2:3]
	global_store_dwordx4 v[62:63], v[12:15], off offset:16
	global_store_dwordx4 v[50:51], v[32:35], off offset:16
	;; [unrolled: 1-line block ×4, first 2 shown]
	v_mul_f64 v[0:1], v[66:67], s[2:3]
	global_store_dwordx4 v[60:61], v[0:3], off offset:32
	scratch_load_dwordx2 v[0:1], off, off offset:48 ; 8-byte Folded Reload
	v_mul_f64 v[14:15], v[68:69], s[2:3]
	v_mul_f64 v[2:3], v[10:11], s[2:3]
	scratch_load_dwordx2 v[10:11], off, off offset:64 ; 8-byte Folded Reload
	v_mul_f64 v[24:25], v[82:83], s[2:3]
	v_mul_f64 v[26:27], v[90:91], s[2:3]
	;; [unrolled: 1-line block ×4, first 2 shown]
	s_waitcnt vmcnt(1)
	v_mul_f64 v[0:1], v[0:1], s[2:3]
	s_waitcnt vmcnt(0)
	v_mul_f64 v[12:13], v[10:11], s[2:3]
	global_store_dwordx4 v[54:55], v[0:3], off offset:32
	global_store_dwordx4 v[62:63], v[12:15], off offset:32
	;; [unrolled: 1-line block ×9, first 2 shown]
	scratch_load_dwordx4 v[0:3], off, off offset:8 ; 16-byte Folded Reload
	s_waitcnt vmcnt(0)
	global_store_dwordx4 v[44:45], v[0:3], off offset:48
	scratch_load_dwordx4 v[0:3], off, off offset:24 ; 16-byte Folded Reload
	s_waitcnt vmcnt(0)
	global_store_dwordx4 v[46:47], v[0:3], off offset:48
	s_nop 1
	v_mul_f64 v[0:1], v[6:7], v[8:9]
	v_lshl_add_u64 v[2:3], s[8:9], 0, v[4:5]
	global_store_dwordx2 v[2:3], v[0:1], off
	s_and_b64 exec, exec, vcc
	s_cbranch_execz .LBB3_3
; %bb.2:
	s_load_dwordx2 s[0:1], s[0:1], 0x68
	v_mov_b32_e32 v0, 0
	s_waitcnt lgkmcnt(0)
	global_store_dword v0, v102, s[0:1]
.LBB3_3:
	s_endpgm
	.section	.rodata,"a",@progbits
	.p2align	6, 0x0
	.amdhsa_kernel _Z3hgcPdS_S_S_S_S_S_PKdS1_S1_PKiS1_S1_Pii
		.amdhsa_group_segment_fixed_size 0
		.amdhsa_private_segment_fixed_size 92
		.amdhsa_kernarg_size 376
		.amdhsa_user_sgpr_count 2
		.amdhsa_user_sgpr_dispatch_ptr 0
		.amdhsa_user_sgpr_queue_ptr 0
		.amdhsa_user_sgpr_kernarg_segment_ptr 1
		.amdhsa_user_sgpr_dispatch_id 0
		.amdhsa_user_sgpr_kernarg_preload_length 0
		.amdhsa_user_sgpr_kernarg_preload_offset 0
		.amdhsa_user_sgpr_private_segment_size 0
		.amdhsa_uses_dynamic_stack 0
		.amdhsa_enable_private_segment 1
		.amdhsa_system_sgpr_workgroup_id_x 1
		.amdhsa_system_sgpr_workgroup_id_y 0
		.amdhsa_system_sgpr_workgroup_id_z 0
		.amdhsa_system_sgpr_workgroup_info 0
		.amdhsa_system_vgpr_workitem_id 0
		.amdhsa_next_free_vgpr 128
		.amdhsa_next_free_sgpr 20
		.amdhsa_accum_offset 128
		.amdhsa_reserve_vcc 1
		.amdhsa_float_round_mode_32 0
		.amdhsa_float_round_mode_16_64 0
		.amdhsa_float_denorm_mode_32 3
		.amdhsa_float_denorm_mode_16_64 3
		.amdhsa_dx10_clamp 1
		.amdhsa_ieee_mode 1
		.amdhsa_fp16_overflow 0
		.amdhsa_tg_split 0
		.amdhsa_exception_fp_ieee_invalid_op 0
		.amdhsa_exception_fp_denorm_src 0
		.amdhsa_exception_fp_ieee_div_zero 0
		.amdhsa_exception_fp_ieee_overflow 0
		.amdhsa_exception_fp_ieee_underflow 0
		.amdhsa_exception_fp_ieee_inexact 0
		.amdhsa_exception_int_div_zero 0
	.end_amdhsa_kernel
	.text
.Lfunc_end3:
	.size	_Z3hgcPdS_S_S_S_S_S_PKdS1_S1_PKiS1_S1_Pii, .Lfunc_end3-_Z3hgcPdS_S_S_S_S_S_PKdS1_S1_PKiS1_S1_Pii
                                        ; -- End function
	.set _Z3hgcPdS_S_S_S_S_S_PKdS1_S1_PKiS1_S1_Pii.num_vgpr, 128
	.set _Z3hgcPdS_S_S_S_S_S_PKdS1_S1_PKiS1_S1_Pii.num_agpr, 0
	.set _Z3hgcPdS_S_S_S_S_S_PKdS1_S1_PKiS1_S1_Pii.numbered_sgpr, 20
	.set _Z3hgcPdS_S_S_S_S_S_PKdS1_S1_PKiS1_S1_Pii.num_named_barrier, 0
	.set _Z3hgcPdS_S_S_S_S_S_PKdS1_S1_PKiS1_S1_Pii.private_seg_size, 92
	.set _Z3hgcPdS_S_S_S_S_S_PKdS1_S1_PKiS1_S1_Pii.uses_vcc, 1
	.set _Z3hgcPdS_S_S_S_S_S_PKdS1_S1_PKiS1_S1_Pii.uses_flat_scratch, 0
	.set _Z3hgcPdS_S_S_S_S_S_PKdS1_S1_PKiS1_S1_Pii.has_dyn_sized_stack, 0
	.set _Z3hgcPdS_S_S_S_S_S_PKdS1_S1_PKiS1_S1_Pii.has_recursion, 0
	.set _Z3hgcPdS_S_S_S_S_S_PKdS1_S1_PKiS1_S1_Pii.has_indirect_call, 0
	.section	.AMDGPU.csdata,"",@progbits
; Kernel info:
; codeLenInByte = 2808
; TotalNumSgprs: 26
; NumVgprs: 128
; NumAgprs: 0
; TotalNumVgprs: 128
; ScratchSize: 92
; MemoryBound: 0
; FloatMode: 240
; IeeeMode: 1
; LDSByteSize: 0 bytes/workgroup (compile time only)
; SGPRBlocks: 3
; VGPRBlocks: 15
; NumSGPRsForWavesPerEU: 26
; NumVGPRsForWavesPerEU: 128
; AccumOffset: 128
; Occupancy: 4
; WaveLimiterHint : 0
; COMPUTE_PGM_RSRC2:SCRATCH_EN: 1
; COMPUTE_PGM_RSRC2:USER_SGPR: 2
; COMPUTE_PGM_RSRC2:TRAP_HANDLER: 0
; COMPUTE_PGM_RSRC2:TGID_X_EN: 1
; COMPUTE_PGM_RSRC2:TGID_Y_EN: 0
; COMPUTE_PGM_RSRC2:TGID_Z_EN: 0
; COMPUTE_PGM_RSRC2:TIDIG_COMP_CNT: 0
; COMPUTE_PGM_RSRC3_GFX90A:ACCUM_OFFSET: 31
; COMPUTE_PGM_RSRC3_GFX90A:TG_SPLIT: 0
	.text
	.protected	_Z2fbPKdS0_S0_S0_S0_S0_S0_S0_S0_S0_S0_S0_PKiS0_PdS3_S3_di ; -- Begin function _Z2fbPKdS0_S0_S0_S0_S0_S0_S0_S0_S0_S0_S0_PKiS0_PdS3_S3_di
	.globl	_Z2fbPKdS0_S0_S0_S0_S0_S0_S0_S0_S0_S0_S0_PKiS0_PdS3_S3_di
	.p2align	8
	.type	_Z2fbPKdS0_S0_S0_S0_S0_S0_S0_S0_S0_S0_S0_PKiS0_PdS3_S3_di,@function
_Z2fbPKdS0_S0_S0_S0_S0_S0_S0_S0_S0_S0_S0_PKiS0_PdS3_S3_di: ; @_Z2fbPKdS0_S0_S0_S0_S0_S0_S0_S0_S0_S0_S0_PKiS0_PdS3_S3_di
; %bb.0:
	s_load_dword s3, s[0:1], 0xa4
	s_load_dword s4, s[0:1], 0x90
	s_waitcnt lgkmcnt(0)
	s_and_b32 s3, s3, 0xffff
	s_mul_i32 s2, s2, s3
	v_add_u32_e32 v64, s2, v0
	v_cmp_gt_i32_e32 vcc, s4, v64
	s_and_saveexec_b64 s[2:3], vcc
	s_cbranch_execz .LBB4_2
; %bb.1:
	s_load_dwordx8 s[36:43], s[0:1], 0x0
	s_load_dwordx8 s[84:91], s[0:1], 0x20
	v_lshlrev_b32_e32 v62, 3, v64
	v_ashrrev_i32_e32 v63, 31, v62
	v_lshlrev_b64 v[0:1], 3, v[62:63]
	s_waitcnt lgkmcnt(0)
	v_lshl_add_u64 v[20:21], s[42:43], 0, v[0:1]
	global_load_dwordx4 v[8:11], v[20:21], off
	v_lshl_add_u64 v[22:23], s[84:85], 0, v[0:1]
	v_mov_b64_e32 v[28:29], v[0:1]
	global_load_dwordx4 v[12:15], v[22:23], off
	global_load_dwordx4 v[0:3], v[22:23], off offset:16
	global_load_dwordx4 v[16:19], v[20:21], off offset:16
	;; [unrolled: 1-line block ×6, first 2 shown]
	s_load_dwordx8 s[20:27], s[0:1], 0x60
	v_mov_b64_e32 v[46:47], v[28:29]
	v_lshl_add_u64 v[44:45], s[38:39], 0, v[46:47]
	v_mov_b64_e32 v[66:67], v[46:47]
	global_load_dwordx4 v[28:31], v[44:45], off
	global_load_dwordx4 v[20:23], v[44:45], off offset:16
	global_load_dwordx4 v[32:35], v[44:45], off offset:32
	v_lshl_add_u64 v[60:61], s[36:37], 0, v[46:47]
	s_waitcnt lgkmcnt(0)
	s_load_dwordx16 s[68:83], s[22:23], 0x0
	s_load_dwordx16 s[52:67], s[22:23], 0x40
	;; [unrolled: 1-line block ×3, first 2 shown]
	scratch_store_dwordx2 off, v[66:67], off ; 8-byte Folded Spill
	v_lshl_add_u64 v[116:117], s[40:41], 0, v[46:47]
	s_load_dwordx16 s[36:51], s[22:23], 0xc0
	global_load_dwordx4 v[56:59], v[60:61], off
	global_load_dwordx4 v[52:55], v[60:61], off offset:16
	global_load_dwordx4 v[48:51], v[60:61], off offset:32
	s_nop 0
	global_load_dwordx4 v[44:47], v[44:45], off offset:48
	v_ashrrev_i32_e32 v65, 31, v64
	s_waitcnt vmcnt(14) lgkmcnt(0)
	v_mul_f64 v[98:99], s[70:71], v[14:15]
	v_mul_f64 v[100:101], s[54:55], v[14:15]
	;; [unrolled: 1-line block ×7, first 2 shown]
	v_fmac_f64_e32 v[108:109], s[68:69], v[8:9]
	v_fmac_f64_e32 v[110:111], s[52:53], v[8:9]
	;; [unrolled: 1-line block ×4, first 2 shown]
	s_waitcnt vmcnt(12)
	v_fmac_f64_e32 v[108:109], s[72:73], v[16:17]
	v_fmac_f64_e32 v[110:111], s[56:57], v[16:17]
	;; [unrolled: 1-line block ×8, first 2 shown]
	s_waitcnt vmcnt(10)
	v_fmac_f64_e32 v[108:109], s[76:77], v[40:41]
	v_fmac_f64_e32 v[110:111], s[60:61], v[40:41]
	;; [unrolled: 1-line block ×8, first 2 shown]
	v_mul_f64 v[118:119], s[38:39], v[14:15]
	s_waitcnt vmcnt(8)
	v_fmac_f64_e32 v[108:109], s[80:81], v[36:37]
	v_fmac_f64_e32 v[110:111], s[64:65], v[36:37]
	;; [unrolled: 1-line block ×4, first 2 shown]
	global_load_dwordx4 v[8:11], v[60:61], off offset:48
	v_lshl_add_u64 v[36:37], s[86:87], 0, v[66:67]
	v_fmac_f64_e32 v[98:99], s[68:69], v[12:13]
	v_fmac_f64_e32 v[100:101], s[52:53], v[12:13]
	;; [unrolled: 1-line block ×4, first 2 shown]
	global_load_dwordx4 v[12:15], v[36:37], off
	global_load_dwordx4 v[16:19], v[36:37], off offset:16
	v_fmac_f64_e32 v[106:107], s[8:9], v[0:1]
	v_fmac_f64_e32 v[98:99], s[72:73], v[0:1]
	;; [unrolled: 1-line block ×24, first 2 shown]
	s_waitcnt vmcnt(9)
	v_mul_f64 v[40:41], v[106:107], v[20:21]
	v_fmac_f64_e32 v[118:119], s[50:51], v[26:27]
	v_fmac_f64_e32 v[108:109], s[82:83], v[38:39]
	;; [unrolled: 1-line block ×4, first 2 shown]
	v_mul_f64 v[88:89], v[98:99], v[30:31]
	s_waitcnt vmcnt(8)
	v_mul_f64 v[94:95], v[98:99], v[32:33]
	v_mul_f64 v[76:77], v[100:101], v[30:31]
	;; [unrolled: 1-line block ×6, first 2 shown]
	s_waitcnt vmcnt(5)
	v_fmac_f64_e32 v[40:41], v[112:113], v[52:53]
	v_mul_f64 v[24:25], v[106:107], v[32:33]
	v_mul_f64 v[30:31], v[118:119], v[32:33]
	;; [unrolled: 1-line block ×13, first 2 shown]
	v_fmac_f64_e32 v[0:1], v[112:113], v[56:57]
	v_mul_f64 v[20:21], v[118:119], v[20:21]
	v_mul_f64 v[22:23], v[118:119], v[22:23]
	v_mov_b64_e32 v[70:71], v[40:41]
	v_mul_f64 v[28:29], v[106:107], v[34:35]
	s_waitcnt vmcnt(4)
	v_fmac_f64_e32 v[32:33], v[114:115], v[50:51]
	s_waitcnt vmcnt(3)
	v_mul_f64 v[40:41], v[106:107], v[44:45]
	v_mul_f64 v[68:69], v[106:107], v[46:47]
	v_lshlrev_b64 v[106:107], 3, v[64:65]
	v_mov_b64_e32 v[60:61], v[0:1]
	global_load_dwordx4 v[0:3], v[36:37], off offset:32
	v_fmac_f64_e32 v[4:5], v[114:115], v[56:57]
	v_fmac_f64_e32 v[6:7], v[114:115], v[58:59]
	;; [unrolled: 1-line block ×9, first 2 shown]
	v_mov_b64_e32 v[50:51], v[32:33]
	v_lshl_add_u64 v[32:33], s[88:89], 0, v[106:107]
	v_fmac_f64_e32 v[86:87], v[108:109], v[56:57]
	v_fmac_f64_e32 v[88:89], v[108:109], v[58:59]
	;; [unrolled: 1-line block ×5, first 2 shown]
	v_mov_b64_e32 v[56:57], v[4:5]
	v_mov_b64_e32 v[58:59], v[6:7]
	v_fmac_f64_e32 v[90:91], v[108:109], v[52:53]
	v_fmac_f64_e32 v[92:93], v[108:109], v[54:55]
	;; [unrolled: 1-line block ×3, first 2 shown]
	global_load_dwordx4 v[4:7], v[36:37], off offset:48
	v_fmac_f64_e32 v[80:81], v[110:111], v[54:55]
	v_fmac_f64_e32 v[42:43], v[112:113], v[54:55]
	v_mov_b64_e32 v[52:53], v[20:21]
	v_mov_b64_e32 v[54:55], v[22:23]
	global_load_dwordx4 v[20:23], v[116:117], off
	v_fmac_f64_e32 v[94:95], v[108:109], v[48:49]
	v_fmac_f64_e32 v[82:83], v[110:111], v[48:49]
	v_mov_b64_e32 v[120:121], v[24:25]
	global_load_dwordx4 v[24:27], v[116:117], off offset:16
	v_mov_b64_e32 v[122:123], v[28:29]
	v_mov_b64_e32 v[48:49], v[30:31]
	global_load_dwordx4 v[28:31], v[116:117], off offset:32
	global_load_dwordx2 v[64:65], v[32:33], off
	s_nop 0
	global_load_dwordx4 v[32:35], v[116:117], off offset:48
	v_mov_b64_e32 v[66:67], v[38:39]
	v_mul_f64 v[36:37], v[118:119], v[44:45]
	v_mul_f64 v[38:39], v[118:119], v[46:47]
	;; [unrolled: 1-line block ×6, first 2 shown]
	s_waitcnt vmcnt(9)
	v_fmac_f64_e32 v[40:41], v[112:113], v[8:9]
	v_fmac_f64_e32 v[36:37], v[114:115], v[8:9]
	;; [unrolled: 1-line block ×7, first 2 shown]
	v_mov_b64_e32 v[110:111], v[40:41]
	v_mov_b64_e32 v[46:47], v[36:37]
	;; [unrolled: 1-line block ×3, first 2 shown]
	s_waitcnt vmcnt(8)
	v_mul_f64 v[40:41], s[70:71], v[14:15]
	v_mul_f64 v[36:37], s[54:55], v[14:15]
	;; [unrolled: 1-line block ×4, first 2 shown]
	v_fmac_f64_e32 v[40:41], s[68:69], v[12:13]
	v_fmac_f64_e32 v[36:37], s[52:53], v[12:13]
	;; [unrolled: 1-line block ×4, first 2 shown]
	v_lshl_add_u64 v[12:13], v[62:63], 2, s[20:21]
	v_mov_b64_e32 v[72:73], v[42:43]
	v_fmac_f64_e32 v[68:69], v[112:113], v[10:11]
	global_load_dwordx4 v[8:11], v[12:13], off
	global_load_dwordx4 v[42:45], v[12:13], off offset:16
	s_waitcnt vmcnt(9)
	v_fmac_f64_e32 v[40:41], s[72:73], v[16:17]
	v_fmac_f64_e32 v[36:37], s[56:57], v[16:17]
	;; [unrolled: 1-line block ×8, first 2 shown]
	s_load_dwordx4 s[20:23], s[0:1], 0x80
	s_waitcnt vmcnt(8)
	v_fmac_f64_e32 v[40:41], s[76:77], v[0:1]
	v_fmac_f64_e32 v[36:37], s[60:61], v[0:1]
	;; [unrolled: 1-line block ×8, first 2 shown]
	s_waitcnt vmcnt(7)
	v_fmac_f64_e32 v[40:41], s[80:81], v[4:5]
	v_fmac_f64_e32 v[36:37], s[64:65], v[4:5]
	;; [unrolled: 1-line block ×8, first 2 shown]
	s_waitcnt vmcnt(6)
	v_fmac_f64_e32 v[60:61], v[38:39], v[20:21]
	s_waitcnt vmcnt(5)
	v_fmac_f64_e32 v[90:91], v[40:41], v[24:25]
	v_fmac_f64_e32 v[78:79], v[36:37], v[24:25]
	;; [unrolled: 1-line block ×3, first 2 shown]
	s_waitcnt vmcnt(3)
	v_frexp_exp_i32_f64_e32 v0, v[64:65]
	v_cvt_f32_i32_e32 v0, v0
	v_div_scale_f64 v[62:63], s[2:3], v[64:65], v[64:65], 1.0
	s_waitcnt vmcnt(2)
	v_fmac_f64_e32 v[104:105], v[40:41], v[34:35]
	v_mul_f32_e32 v0, 0x3eaaaaab, v0
	v_rndne_f32_e32 v0, v0
	v_cvt_i32_f32_e32 v12, v0
	v_fmac_f64_e32 v[100:101], v[36:37], v[34:35]
	v_fmac_f64_e32 v[68:69], v[38:39], v[34:35]
	v_rcp_f64_e32 v[16:17], v[62:63]
	v_mul_lo_u32 v0, v12, -3
	v_ldexp_f64 v[6:7], |v[64:65]|, v0
	v_cvt_f32_f64_e32 v0, v[6:7]
	v_log_f32_e32 v0, v0
	v_fmac_f64_e32 v[108:109], v[14:15], v[34:35]
	v_fmac_f64_e32 v[52:53], v[14:15], v[24:25]
	scratch_store_dwordx2 off, v[108:109], off offset:120 ; 8-byte Folded Spill
	v_mul_f32_e32 v0, 0x3eaaaaab, v0
	v_exp_f32_e32 v2, v0
	v_fma_f64 v[0:1], -v[62:63], v[16:17], 1.0
	v_fmac_f64_e32 v[16:17], v[16:17], v[0:1]
	v_fma_f64 v[0:1], -v[62:63], v[16:17], 1.0
	v_cvt_f64_f32_e32 v[34:35], v2
	v_mul_f64 v[2:3], v[34:35], v[34:35]
	v_add_f64 v[4:5], v[34:35], v[34:35]
	v_fma_f64 v[24:25], -v[34:35], v[2:3], v[6:7]
	v_fmac_f64_e32 v[6:7], v[4:5], v[2:3]
	v_rcp_f64_e32 v[108:109], v[6:7]
	v_fmac_f64_e32 v[16:17], v[16:17], v[0:1]
	v_fmac_f64_e32 v[66:67], v[38:39], v[22:23]
	;; [unrolled: 1-line block ×3, first 2 shown]
	v_fma_f64 v[0:1], -v[6:7], v[108:109], 1.0
	v_fmac_f64_e32 v[58:59], v[14:15], v[22:23]
	v_fmac_f64_e32 v[92:93], v[40:41], v[26:27]
	;; [unrolled: 1-line block ×12, first 2 shown]
	s_waitcnt vmcnt(2)
	v_ashrrev_i32_e32 v1, 31, v8
	v_mov_b32_e32 v0, v8
	v_ashrrev_i32_e32 v3, 31, v9
	v_mov_b32_e32 v2, v9
	;; [unrolled: 2-line block ×4, first 2 shown]
	s_waitcnt vmcnt(1)
	v_ashrrev_i32_e32 v11, 31, v42
	v_mov_b32_e32 v10, v42
	v_ashrrev_i32_e32 v15, 31, v43
	v_mov_b32_e32 v14, v43
	;; [unrolled: 2-line block ×4, first 2 shown]
	scratch_store_dwordx2 off, v[60:61], off offset:24 ; 8-byte Folded Spill
	scratch_store_dwordx2 off, v[66:67], off offset:32 ; 8-byte Folded Spill
	;; [unrolled: 1-line block ×5, first 2 shown]
	v_fmac_f64_e32 v[110:111], v[38:39], v[32:33]
	scratch_store_dwordx2 off, v[46:47], off offset:112 ; 8-byte Folded Spill
	v_lshlrev_b64 v[66:67], 3, v[0:1]
	v_lshlrev_b64 v[52:53], 3, v[2:3]
	;; [unrolled: 1-line block ×8, first 2 shown]
	v_fmac_f64_e32 v[86:87], v[40:41], v[20:21]
	v_fmac_f64_e32 v[88:89], v[40:41], v[22:23]
	;; [unrolled: 1-line block ×4, first 2 shown]
	scratch_store_dwordx2 off, v[110:111], off offset:104 ; 8-byte Folded Spill
	v_lshl_add_u64 v[0:1], s[90:91], 0, v[66:67]
	v_lshl_add_u64 v[20:21], s[90:91], 0, v[52:53]
	;; [unrolled: 1-line block ×8, first 2 shown]
	s_load_dwordx8 s[84:91], s[0:1], 0x40
	v_fma_f64 v[8:9], -v[6:7], v[108:109], 1.0
	v_fmac_f64_e32 v[122:123], v[38:39], v[30:31]
	v_fmac_f64_e32 v[108:109], v[8:9], v[108:109]
	scratch_store_dwordx2 off, v[56:57], off offset:8 ; 8-byte Folded Spill
	s_waitcnt lgkmcnt(0)
	v_lshl_add_u64 v[10:11], s[88:89], 0, v[106:107]
	global_load_dwordx2 v[10:11], v[10:11], off
	v_mul_f64 v[8:9], v[24:25], v[108:109]
	scratch_store_dwordx2 off, v[58:59], off offset:16 ; 8-byte Folded Spill
	scratch_store_dwordx2 off, v[70:71], off offset:56 ; 8-byte Folded Spill
	;; [unrolled: 1-line block ×6, first 2 shown]
	v_lshl_add_u64 v[14:15], s[90:91], 0, v[106:107]
	v_fmac_f64_e32 v[96:97], v[40:41], v[30:31]
	v_fmac_f64_e32 v[84:85], v[36:37], v[30:31]
	;; [unrolled: 1-line block ×4, first 2 shown]
	v_fma_f64 v[6:7], -v[6:7], v[8:9], v[24:25]
	global_load_dwordx2 v[14:15], v[14:15], off
	s_nop 0
	global_load_dwordx2 v[38:39], v[20:21], off
	global_load_dwordx2 v[36:37], v[0:1], off
	;; [unrolled: 1-line block ×8, first 2 shown]
	v_fmac_f64_e32 v[8:9], v[6:7], v[108:109]
	v_fmac_f64_e32 v[34:35], v[34:35], v[8:9]
	v_mov_b32_e32 v4, 0x47ae147b
	v_mov_b32_e32 v5, 0xbf847ae1
	v_mul_f64 v[4:5], s[22:23], v[4:5]
	v_ldexp_f64 v[6:7], v[34:35], v12
	v_mov_b32_e32 v8, 0x198
	s_brev_b32 s0, -2
	v_bfi_b32 v7, s0, v7, v65
	v_cmp_class_f64_e64 s[0:1], v[64:65], v8
	v_div_scale_f64 v[0:1], vcc, 1.0, v[64:65], 1.0
	s_nop 0
	v_cndmask_b32_e64 v6, v64, v6, s[0:1]
	v_cndmask_b32_e64 v7, v65, v7, s[0:1]
	v_mul_f64 v[2:3], v[0:1], v[16:17]
	v_fma_f64 v[0:1], -v[62:63], v[2:3], v[0:1]
	v_div_fmas_f64 v[0:1], v[0:1], v[16:17], v[2:3]
	v_div_fixup_f64 v[34:35], v[0:1], v[64:65], 1.0
	v_fma_f64 v[20:21], -v[34:35], v[76:77], s[54:55]
	v_fma_f64 v[124:125], -v[34:35], v[88:89], s[70:71]
	;; [unrolled: 1-line block ×17, first 2 shown]
	s_waitcnt vmcnt(15)
	v_mul_f64 v[4:5], v[4:5], v[10:11]
	s_waitcnt vmcnt(8)
	v_mul_f64 v[4:5], v[4:5], v[14:15]
	v_div_scale_f64 v[8:9], s[0:1], v[6:7], v[6:7], v[4:5]
	v_rcp_f64_e32 v[10:11], v[8:9]
	s_waitcnt vmcnt(7)
	v_mul_f64 v[0:1], v[38:39], v[124:125]
	s_waitcnt vmcnt(6)
	v_fmac_f64_e32 v[0:1], v[36:37], v[22:23]
	s_waitcnt vmcnt(5)
	v_fmac_f64_e32 v[0:1], v[28:29], v[120:121]
	v_fma_f64 v[2:3], -v[8:9], v[10:11], 1.0
	v_fmac_f64_e32 v[10:11], v[10:11], v[2:3]
	v_fma_f64 v[2:3], -v[8:9], v[10:11], 1.0
	v_fmac_f64_e32 v[10:11], v[10:11], v[2:3]
	v_div_scale_f64 v[2:3], vcc, v[4:5], v[6:7], v[4:5]
	v_mul_f64 v[12:13], v[2:3], v[10:11]
	v_fma_f64 v[2:3], -v[8:9], v[12:13], v[2:3]
	s_waitcnt vmcnt(4)
	v_fmac_f64_e32 v[0:1], v[32:33], v[106:107]
	v_div_fmas_f64 v[2:3], v[2:3], v[10:11], v[12:13]
	v_div_fixup_f64 v[16:17], v[2:3], v[6:7], v[4:5]
	v_mul_f64 v[2:3], v[38:39], v[20:21]
	v_fmac_f64_e32 v[2:3], v[36:37], v[18:19]
	v_fmac_f64_e32 v[2:3], v[28:29], v[126:127]
	;; [unrolled: 1-line block ×3, first 2 shown]
	s_waitcnt vmcnt(3)
	v_fmac_f64_e32 v[2:3], v[26:27], v[104:105]
	v_fmac_f64_e32 v[0:1], v[26:27], v[94:95]
	s_waitcnt vmcnt(2)
	v_fmac_f64_e32 v[2:3], v[30:31], v[96:97]
	v_fmac_f64_e32 v[0:1], v[30:31], v[90:91]
	;; [unrolled: 3-line block ×3, first 2 shown]
	s_waitcnt vmcnt(0)
	v_fmac_f64_e32 v[2:3], v[24:25], v[80:81]
	scratch_store_dwordx2 off, v[24:25], off offset:128 ; 8-byte Folded Spill
	v_fmac_f64_e32 v[0:1], v[24:25], v[86:87]
	v_mul_f64 v[24:25], v[18:19], v[2:3]
	v_mul_f64 v[64:65], v[20:21], v[2:3]
	;; [unrolled: 1-line block ×8, first 2 shown]
	v_fmac_f64_e32 v[24:25], v[22:23], v[0:1]
	v_fmac_f64_e32 v[64:65], v[124:125], v[0:1]
	;; [unrolled: 1-line block ×8, first 2 shown]
	v_lshl_add_u64 v[0:1], s[84:85], 0, v[66:67]
	global_load_dwordx2 v[72:73], v[0:1], off
	v_lshl_add_u64 v[0:1], s[84:85], 0, v[52:53]
	global_load_dwordx2 v[70:71], v[0:1], off
	;; [unrolled: 2-line block ×8, first 2 shown]
	v_lshl_add_u64 v[52:53], s[86:87], 0, v[52:53]
	scratch_store_dwordx2 off, v[32:33], off offset:144 ; 8-byte Folded Spill
	scratch_store_dwordx2 off, v[40:41], off offset:136 ; 8-byte Folded Spill
	v_lshl_add_u64 v[48:49], s[86:87], 0, v[48:49]
	v_lshl_add_u64 v[44:45], s[86:87], 0, v[44:45]
	;; [unrolled: 1-line block ×5, first 2 shown]
	s_waitcnt vmcnt(8)
	v_mul_f64 v[4:5], v[70:71], v[20:21]
	v_mul_f64 v[0:1], v[70:71], v[124:125]
	v_fmac_f64_e32 v[4:5], v[72:73], v[18:19]
	v_fmac_f64_e32 v[0:1], v[72:73], v[22:23]
	s_waitcnt vmcnt(7)
	v_fmac_f64_e32 v[4:5], v[108:109], v[126:127]
	v_fmac_f64_e32 v[0:1], v[108:109], v[120:121]
	s_waitcnt vmcnt(6)
	v_fmac_f64_e32 v[4:5], v[110:111], v[122:123]
	v_fmac_f64_e32 v[0:1], v[110:111], v[106:107]
	s_waitcnt vmcnt(5)
	v_fmac_f64_e32 v[4:5], v[112:113], v[104:105]
	v_fmac_f64_e32 v[0:1], v[112:113], v[94:95]
	s_waitcnt vmcnt(4)
	v_fmac_f64_e32 v[4:5], v[114:115], v[96:97]
	v_fmac_f64_e32 v[0:1], v[114:115], v[90:91]
	s_waitcnt vmcnt(3)
	v_fmac_f64_e32 v[4:5], v[116:117], v[84:85]
	v_fmac_f64_e32 v[0:1], v[116:117], v[88:89]
	s_waitcnt vmcnt(2)
	v_fmac_f64_e32 v[4:5], v[118:119], v[80:81]
	v_fmac_f64_e32 v[0:1], v[118:119], v[86:87]
	v_mul_f64 v[62:63], v[18:19], v[4:5]
	v_mul_f64 v[58:59], v[20:21], v[4:5]
	;; [unrolled: 1-line block ×8, first 2 shown]
	v_fmac_f64_e32 v[62:63], v[22:23], v[0:1]
	v_fmac_f64_e32 v[58:59], v[124:125], v[0:1]
	;; [unrolled: 1-line block ×8, first 2 shown]
	v_lshl_add_u64 v[0:1], s[86:87], 0, v[66:67]
	global_load_dwordx2 v[66:67], v[0:1], off
	s_nop 0
	global_load_dwordx2 v[52:53], v[52:53], off
	s_nop 0
	global_load_dwordx2 v[98:99], v[48:49], off
	global_load_dwordx2 v[102:103], v[44:45], off
	v_lshl_add_u64 v[48:49], s[86:87], 0, v[60:61]
	global_load_dwordx2 v[44:45], v[48:49], off
	s_nop 0
	global_load_dwordx2 v[50:51], v[50:51], off
	s_nop 0
	global_load_dwordx2 v[46:47], v[46:47], off
	s_nop 0
	global_load_dwordx2 v[42:43], v[42:43], off
	s_waitcnt vmcnt(6)
	v_mul_f64 v[0:1], v[52:53], v[20:21]
	v_mul_f64 v[48:49], v[52:53], v[124:125]
	v_fmac_f64_e32 v[0:1], v[66:67], v[18:19]
	v_fmac_f64_e32 v[48:49], v[66:67], v[22:23]
	s_waitcnt vmcnt(5)
	v_fmac_f64_e32 v[0:1], v[98:99], v[126:127]
	v_fmac_f64_e32 v[48:49], v[98:99], v[120:121]
	s_waitcnt vmcnt(4)
	;; [unrolled: 3-line block ×6, first 2 shown]
	v_fmac_f64_e32 v[0:1], v[42:43], v[80:81]
	v_fmac_f64_e32 v[48:49], v[42:43], v[86:87]
	v_mul_f64 v[18:19], v[18:19], v[0:1]
	v_fmac_f64_e32 v[18:19], v[22:23], v[48:49]
	v_mul_f64 v[22:23], v[126:127], v[0:1]
	v_mul_f64 v[104:105], v[104:105], v[0:1]
	;; [unrolled: 1-line block ×3, first 2 shown]
	v_fmac_f64_e32 v[22:23], v[120:121], v[48:49]
	v_mul_f64 v[120:121], v[122:123], v[0:1]
	v_fmac_f64_e32 v[104:105], v[94:95], v[48:49]
	v_mul_f64 v[94:95], v[96:97], v[0:1]
	v_mul_f64 v[84:85], v[84:85], v[0:1]
	;; [unrolled: 1-line block ×3, first 2 shown]
	scratch_load_dwordx2 v[0:1], off, off offset:24 ; 8-byte Folded Reload
	v_fmac_f64_e32 v[20:21], v[124:125], v[48:49]
	v_fmac_f64_e32 v[120:121], v[106:107], v[48:49]
	;; [unrolled: 1-line block ×5, first 2 shown]
	s_waitcnt vmcnt(0)
	v_fma_f64 v[2:3], -v[34:35], v[0:1], s[4:5]
	scratch_load_dwordx2 v[0:1], off, off offset:32 ; 8-byte Folded Reload
	s_waitcnt vmcnt(0)
	v_fma_f64 v[48:49], -v[34:35], v[0:1], s[6:7]
	scratch_load_dwordx2 v[0:1], off, off offset:56 ; 8-byte Folded Reload
	;; [unrolled: 3-line block ×14, first 2 shown]
	s_waitcnt vmcnt(0)
	v_fma_f64 v[10:11], -v[34:35], v[0:1], s[50:51]
	v_mul_f64 v[34:35], v[38:39], v[48:49]
	v_mul_f64 v[0:1], v[38:39], v[124:125]
	v_fmac_f64_e32 v[34:35], v[36:37], v[2:3]
	v_fmac_f64_e32 v[0:1], v[36:37], v[122:123]
	;; [unrolled: 1-line block ×4, first 2 shown]
	scratch_load_dwordx2 v[28:29], off, off offset:144 ; 8-byte Folded Reload
	s_waitcnt vmcnt(0)
	v_fmac_f64_e32 v[34:35], v[28:29], v[88:89]
	v_fmac_f64_e32 v[0:1], v[28:29], v[60:61]
	;; [unrolled: 1-line block ×4, first 2 shown]
	scratch_load_dwordx2 v[26:27], off, off offset:136 ; 8-byte Folded Reload
	v_fmac_f64_e32 v[34:35], v[30:31], v[96:97]
	v_fmac_f64_e32 v[0:1], v[30:31], v[6:7]
	s_waitcnt vmcnt(0)
	v_fmac_f64_e32 v[34:35], v[26:27], v[106:107]
	v_fmac_f64_e32 v[0:1], v[26:27], v[8:9]
	scratch_load_dwordx2 v[26:27], off, off offset:128 ; 8-byte Folded Reload
	s_waitcnt vmcnt(0)
	v_fmac_f64_e32 v[34:35], v[26:27], v[68:69]
	v_fmac_f64_e32 v[0:1], v[26:27], v[10:11]
	v_fmac_f64_e32 v[24:25], v[2:3], v[34:35]
	v_fmac_f64_e32 v[64:65], v[48:49], v[34:35]
	v_fmac_f64_e32 v[74:75], v[86:87], v[34:35]
	v_fmac_f64_e32 v[76:77], v[88:89], v[34:35]
	v_fmac_f64_e32 v[78:79], v[90:91], v[34:35]
	v_fmac_f64_e32 v[82:83], v[96:97], v[34:35]
	v_fmac_f64_e32 v[92:93], v[106:107], v[34:35]
	v_fmac_f64_e32 v[100:101], v[68:69], v[34:35]
	v_fmac_f64_e32 v[24:25], v[122:123], v[0:1]
	v_fmac_f64_e32 v[64:65], v[124:125], v[0:1]
	v_fmac_f64_e32 v[74:75], v[126:127], v[0:1]
	v_fmac_f64_e32 v[76:77], v[60:61], v[0:1]
	v_fmac_f64_e32 v[78:79], v[4:5], v[0:1]
	v_fmac_f64_e32 v[82:83], v[6:7], v[0:1]
	v_fmac_f64_e32 v[92:93], v[8:9], v[0:1]
	v_fmac_f64_e32 v[100:101], v[10:11], v[0:1]
	v_mul_f64 v[0:1], v[70:71], v[48:49]
	v_fmac_f64_e32 v[0:1], v[72:73], v[2:3]
	v_fmac_f64_e32 v[0:1], v[108:109], v[86:87]
	;; [unrolled: 1-line block ×15, first 2 shown]
	v_mul_f64 v[0:1], v[52:53], v[48:49]
	v_fmac_f64_e32 v[0:1], v[66:67], v[2:3]
	v_fmac_f64_e32 v[0:1], v[98:99], v[86:87]
	;; [unrolled: 1-line block ×8, first 2 shown]
	scratch_load_dwordx2 v[2:3], off, off   ; 8-byte Folded Reload
	v_mul_f64 v[70:71], v[70:71], v[124:125]
	v_fmac_f64_e32 v[70:71], v[72:73], v[122:123]
	v_fmac_f64_e32 v[70:71], v[108:109], v[126:127]
	v_fmac_f64_e32 v[70:71], v[110:111], v[60:61]
	v_fmac_f64_e32 v[70:71], v[112:113], v[4:5]
	v_fmac_f64_e32 v[70:71], v[114:115], v[6:7]
	v_fmac_f64_e32 v[70:71], v[116:117], v[8:9]
	v_fmac_f64_e32 v[70:71], v[118:119], v[10:11]
	v_fmac_f64_e32 v[12:13], v[60:61], v[70:71]
	v_mul_f64 v[34:35], v[16:17], v[12:13]
	v_mul_f64 v[12:13], v[52:53], v[124:125]
	v_fmac_f64_e32 v[12:13], v[66:67], v[122:123]
	v_fmac_f64_e32 v[12:13], v[98:99], v[126:127]
	v_fmac_f64_e32 v[12:13], v[102:103], v[60:61]
	v_fmac_f64_e32 v[12:13], v[44:45], v[4:5]
	v_fmac_f64_e32 v[12:13], v[50:51], v[6:7]
	v_fmac_f64_e32 v[12:13], v[46:47], v[8:9]
	v_mul_f64 v[24:25], v[16:17], v[24:25]
	v_mul_f64 v[26:27], v[16:17], v[64:65]
	v_fmac_f64_e32 v[62:63], v[122:123], v[70:71]
	v_fmac_f64_e32 v[58:59], v[124:125], v[70:71]
	;; [unrolled: 1-line block ×10, first 2 shown]
	v_mul_f64 v[28:29], v[16:17], v[74:75]
	v_mul_f64 v[30:31], v[16:17], v[76:77]
	;; [unrolled: 1-line block ×8, first 2 shown]
	v_fmac_f64_e32 v[32:33], v[126:127], v[70:71]
	v_fmac_f64_e32 v[54:55], v[4:5], v[70:71]
	v_fmac_f64_e32 v[56:57], v[6:7], v[70:71]
	v_fmac_f64_e32 v[40:41], v[8:9], v[70:71]
	v_fmac_f64_e32 v[14:15], v[10:11], v[70:71]
	v_fmac_f64_e32 v[18:19], v[122:123], v[12:13]
	v_fmac_f64_e32 v[20:21], v[124:125], v[12:13]
	v_mul_f64 v[32:33], v[16:17], v[32:33]
	v_mul_f64 v[54:55], v[16:17], v[54:55]
	;; [unrolled: 1-line block ×7, first 2 shown]
	v_fmac_f64_e32 v[22:23], v[126:127], v[12:13]
	v_fmac_f64_e32 v[120:121], v[60:61], v[12:13]
	v_fmac_f64_e32 v[104:105], v[4:5], v[12:13]
	v_fmac_f64_e32 v[94:95], v[6:7], v[12:13]
	v_fmac_f64_e32 v[84:85], v[8:9], v[12:13]
	v_fmac_f64_e32 v[80:81], v[10:11], v[12:13]
	v_mul_f64 v[40:41], v[16:17], v[22:23]
	v_mul_f64 v[42:43], v[16:17], v[120:121]
	;; [unrolled: 1-line block ×6, first 2 shown]
	s_waitcnt vmcnt(0)
	v_lshl_add_u64 v[0:1], s[24:25], 0, v[2:3]
	global_store_dwordx4 v[0:1], v[24:27], off
	global_store_dwordx4 v[0:1], v[28:31], off offset:16
	global_store_dwordx4 v[0:1], v[74:77], off offset:32
	global_store_dwordx4 v[0:1], v[36:39], off offset:48
	v_lshl_add_u64 v[0:1], s[26:27], 0, v[2:3]
	global_store_dwordx4 v[0:1], v[62:65], off
	global_store_dwordx4 v[0:1], v[32:35], off offset:16
	global_store_dwordx4 v[0:1], v[54:57], off offset:32
	global_store_dwordx4 v[0:1], v[70:73], off offset:48
	;; [unrolled: 5-line block ×3, first 2 shown]
.LBB4_2:
	s_endpgm
	.section	.rodata,"a",@progbits
	.p2align	6, 0x0
	.amdhsa_kernel _Z2fbPKdS0_S0_S0_S0_S0_S0_S0_S0_S0_S0_S0_PKiS0_PdS3_S3_di
		.amdhsa_group_segment_fixed_size 0
		.amdhsa_private_segment_fixed_size 156
		.amdhsa_kernarg_size 408
		.amdhsa_user_sgpr_count 2
		.amdhsa_user_sgpr_dispatch_ptr 0
		.amdhsa_user_sgpr_queue_ptr 0
		.amdhsa_user_sgpr_kernarg_segment_ptr 1
		.amdhsa_user_sgpr_dispatch_id 0
		.amdhsa_user_sgpr_kernarg_preload_length 0
		.amdhsa_user_sgpr_kernarg_preload_offset 0
		.amdhsa_user_sgpr_private_segment_size 0
		.amdhsa_uses_dynamic_stack 0
		.amdhsa_enable_private_segment 1
		.amdhsa_system_sgpr_workgroup_id_x 1
		.amdhsa_system_sgpr_workgroup_id_y 0
		.amdhsa_system_sgpr_workgroup_id_z 0
		.amdhsa_system_sgpr_workgroup_info 0
		.amdhsa_system_vgpr_workitem_id 0
		.amdhsa_next_free_vgpr 128
		.amdhsa_next_free_sgpr 92
		.amdhsa_accum_offset 128
		.amdhsa_reserve_vcc 1
		.amdhsa_float_round_mode_32 0
		.amdhsa_float_round_mode_16_64 0
		.amdhsa_float_denorm_mode_32 3
		.amdhsa_float_denorm_mode_16_64 3
		.amdhsa_dx10_clamp 1
		.amdhsa_ieee_mode 1
		.amdhsa_fp16_overflow 0
		.amdhsa_tg_split 0
		.amdhsa_exception_fp_ieee_invalid_op 0
		.amdhsa_exception_fp_denorm_src 0
		.amdhsa_exception_fp_ieee_div_zero 0
		.amdhsa_exception_fp_ieee_overflow 0
		.amdhsa_exception_fp_ieee_underflow 0
		.amdhsa_exception_fp_ieee_inexact 0
		.amdhsa_exception_int_div_zero 0
	.end_amdhsa_kernel
	.text
.Lfunc_end4:
	.size	_Z2fbPKdS0_S0_S0_S0_S0_S0_S0_S0_S0_S0_S0_PKiS0_PdS3_S3_di, .Lfunc_end4-_Z2fbPKdS0_S0_S0_S0_S0_S0_S0_S0_S0_S0_S0_PKiS0_PdS3_S3_di
                                        ; -- End function
	.set _Z2fbPKdS0_S0_S0_S0_S0_S0_S0_S0_S0_S0_S0_PKiS0_PdS3_S3_di.num_vgpr, 128
	.set _Z2fbPKdS0_S0_S0_S0_S0_S0_S0_S0_S0_S0_S0_PKiS0_PdS3_S3_di.num_agpr, 0
	.set _Z2fbPKdS0_S0_S0_S0_S0_S0_S0_S0_S0_S0_S0_PKiS0_PdS3_S3_di.numbered_sgpr, 92
	.set _Z2fbPKdS0_S0_S0_S0_S0_S0_S0_S0_S0_S0_S0_PKiS0_PdS3_S3_di.num_named_barrier, 0
	.set _Z2fbPKdS0_S0_S0_S0_S0_S0_S0_S0_S0_S0_S0_PKiS0_PdS3_S3_di.private_seg_size, 156
	.set _Z2fbPKdS0_S0_S0_S0_S0_S0_S0_S0_S0_S0_S0_PKiS0_PdS3_S3_di.uses_vcc, 1
	.set _Z2fbPKdS0_S0_S0_S0_S0_S0_S0_S0_S0_S0_S0_PKiS0_PdS3_S3_di.uses_flat_scratch, 0
	.set _Z2fbPKdS0_S0_S0_S0_S0_S0_S0_S0_S0_S0_S0_PKiS0_PdS3_S3_di.has_dyn_sized_stack, 0
	.set _Z2fbPKdS0_S0_S0_S0_S0_S0_S0_S0_S0_S0_S0_PKiS0_PdS3_S3_di.has_recursion, 0
	.set _Z2fbPKdS0_S0_S0_S0_S0_S0_S0_S0_S0_S0_S0_PKiS0_PdS3_S3_di.has_indirect_call, 0
	.section	.AMDGPU.csdata,"",@progbits
; Kernel info:
; codeLenInByte = 4464
; TotalNumSgprs: 98
; NumVgprs: 128
; NumAgprs: 0
; TotalNumVgprs: 128
; ScratchSize: 156
; MemoryBound: 0
; FloatMode: 240
; IeeeMode: 1
; LDSByteSize: 0 bytes/workgroup (compile time only)
; SGPRBlocks: 12
; VGPRBlocks: 15
; NumSGPRsForWavesPerEU: 98
; NumVGPRsForWavesPerEU: 128
; AccumOffset: 128
; Occupancy: 4
; WaveLimiterHint : 0
; COMPUTE_PGM_RSRC2:SCRATCH_EN: 1
; COMPUTE_PGM_RSRC2:USER_SGPR: 2
; COMPUTE_PGM_RSRC2:TRAP_HANDLER: 0
; COMPUTE_PGM_RSRC2:TGID_X_EN: 1
; COMPUTE_PGM_RSRC2:TGID_Y_EN: 0
; COMPUTE_PGM_RSRC2:TGID_Z_EN: 0
; COMPUTE_PGM_RSRC2:TIDIG_COMP_CNT: 0
; COMPUTE_PGM_RSRC3_GFX90A:ACCUM_OFFSET: 31
; COMPUTE_PGM_RSRC3_GFX90A:TG_SPLIT: 0
	.text
	.protected	_Z19collect_final_forcePKdS0_S0_PdS1_S1_PKiS3_i ; -- Begin function _Z19collect_final_forcePKdS0_S0_PdS1_S1_PKiS3_i
	.globl	_Z19collect_final_forcePKdS0_S0_PdS1_S1_PKiS3_i
	.p2align	8
	.type	_Z19collect_final_forcePKdS0_S0_PdS1_S1_PKiS3_i,@function
_Z19collect_final_forcePKdS0_S0_PdS1_S1_PKiS3_i: ; @_Z19collect_final_forcePKdS0_S0_PdS1_S1_PKiS3_i
; %bb.0:
	s_load_dword s3, s[0:1], 0x54
	s_load_dword s4, s[0:1], 0x40
	s_waitcnt lgkmcnt(0)
	s_and_b32 s3, s3, 0xffff
	s_mul_i32 s2, s2, s3
	v_add_u32_e32 v0, s2, v0
	v_cmp_gt_i32_e32 vcc, s4, v0
	s_and_saveexec_b64 s[2:3], vcc
	s_cbranch_execz .LBB5_6
; %bb.1:
	s_load_dwordx2 s[2:3], s[0:1], 0x30
	v_ashrrev_i32_e32 v1, 31, v0
	s_mov_b32 s12, 0
	v_mov_b64_e32 v[4:5], 0
	v_mov_b64_e32 v[6:7], 0
	s_waitcnt lgkmcnt(0)
	v_lshl_add_u64 v[2:3], v[0:1], 2, s[2:3]
	global_load_dwordx2 v[8:9], v[2:3], off
	v_mov_b64_e32 v[2:3], 0
	s_waitcnt vmcnt(0)
	v_sub_u32_e32 v10, v9, v8
	v_cmp_lt_i32_e32 vcc, 0, v10
	s_and_saveexec_b64 s[2:3], vcc
	s_cbranch_execz .LBB5_5
; %bb.2:
	s_load_dwordx2 s[10:11], s[0:1], 0x38
	s_load_dwordx4 s[4:7], s[0:1], 0x0
	s_load_dwordx2 s[8:9], s[0:1], 0x10
	v_ashrrev_i32_e32 v9, 31, v8
	v_mov_b64_e32 v[2:3], 0
	s_waitcnt lgkmcnt(0)
	v_lshl_add_u64 v[8:9], v[8:9], 2, s[10:11]
	s_mov_b64 s[10:11], 0
	v_mov_b64_e32 v[4:5], 0
	v_mov_b64_e32 v[6:7], 0
.LBB5_3:                                ; =>This Inner Loop Header: Depth=1
	global_load_dword v12, v[8:9], off
	s_add_i32 s12, s12, 1
	v_cmp_ge_i32_e32 vcc, s12, v10
	v_lshl_add_u64 v[8:9], v[8:9], 0, 4
	s_or_b64 s[10:11], vcc, s[10:11]
	s_waitcnt vmcnt(0)
	v_ashrrev_i32_e32 v13, 31, v12
	v_lshlrev_b64 v[12:13], 3, v[12:13]
	v_lshl_add_u64 v[14:15], s[4:5], 0, v[12:13]
	v_lshl_add_u64 v[16:17], s[6:7], 0, v[12:13]
	;; [unrolled: 1-line block ×3, first 2 shown]
	global_load_dwordx2 v[18:19], v[14:15], off
	global_load_dwordx2 v[20:21], v[16:17], off
	;; [unrolled: 1-line block ×3, first 2 shown]
	s_waitcnt vmcnt(2)
	v_add_f64 v[6:7], v[6:7], v[18:19]
	s_waitcnt vmcnt(1)
	v_add_f64 v[4:5], v[4:5], v[20:21]
	;; [unrolled: 2-line block ×3, first 2 shown]
	s_andn2_b64 exec, exec, s[10:11]
	s_cbranch_execnz .LBB5_3
; %bb.4:
	s_or_b64 exec, exec, s[10:11]
.LBB5_5:
	s_or_b64 exec, exec, s[2:3]
	s_load_dwordx4 s[4:7], s[0:1], 0x18
	s_load_dwordx2 s[2:3], s[0:1], 0x28
	v_lshlrev_b64 v[0:1], 3, v[0:1]
	s_waitcnt lgkmcnt(0)
	v_lshl_add_u64 v[8:9], s[4:5], 0, v[0:1]
	global_store_dwordx2 v[8:9], v[6:7], off
	v_lshl_add_u64 v[6:7], s[6:7], 0, v[0:1]
	v_lshl_add_u64 v[0:1], s[2:3], 0, v[0:1]
	global_store_dwordx2 v[6:7], v[4:5], off
	global_store_dwordx2 v[0:1], v[2:3], off
.LBB5_6:
	s_endpgm
	.section	.rodata,"a",@progbits
	.p2align	6, 0x0
	.amdhsa_kernel _Z19collect_final_forcePKdS0_S0_PdS1_S1_PKiS3_i
		.amdhsa_group_segment_fixed_size 0
		.amdhsa_private_segment_fixed_size 0
		.amdhsa_kernarg_size 328
		.amdhsa_user_sgpr_count 2
		.amdhsa_user_sgpr_dispatch_ptr 0
		.amdhsa_user_sgpr_queue_ptr 0
		.amdhsa_user_sgpr_kernarg_segment_ptr 1
		.amdhsa_user_sgpr_dispatch_id 0
		.amdhsa_user_sgpr_kernarg_preload_length 0
		.amdhsa_user_sgpr_kernarg_preload_offset 0
		.amdhsa_user_sgpr_private_segment_size 0
		.amdhsa_uses_dynamic_stack 0
		.amdhsa_enable_private_segment 0
		.amdhsa_system_sgpr_workgroup_id_x 1
		.amdhsa_system_sgpr_workgroup_id_y 0
		.amdhsa_system_sgpr_workgroup_id_z 0
		.amdhsa_system_sgpr_workgroup_info 0
		.amdhsa_system_vgpr_workitem_id 0
		.amdhsa_next_free_vgpr 24
		.amdhsa_next_free_sgpr 13
		.amdhsa_accum_offset 24
		.amdhsa_reserve_vcc 1
		.amdhsa_float_round_mode_32 0
		.amdhsa_float_round_mode_16_64 0
		.amdhsa_float_denorm_mode_32 3
		.amdhsa_float_denorm_mode_16_64 3
		.amdhsa_dx10_clamp 1
		.amdhsa_ieee_mode 1
		.amdhsa_fp16_overflow 0
		.amdhsa_tg_split 0
		.amdhsa_exception_fp_ieee_invalid_op 0
		.amdhsa_exception_fp_denorm_src 0
		.amdhsa_exception_fp_ieee_div_zero 0
		.amdhsa_exception_fp_ieee_overflow 0
		.amdhsa_exception_fp_ieee_underflow 0
		.amdhsa_exception_fp_ieee_inexact 0
		.amdhsa_exception_int_div_zero 0
	.end_amdhsa_kernel
	.text
.Lfunc_end5:
	.size	_Z19collect_final_forcePKdS0_S0_PdS1_S1_PKiS3_i, .Lfunc_end5-_Z19collect_final_forcePKdS0_S0_PdS1_S1_PKiS3_i
                                        ; -- End function
	.set _Z19collect_final_forcePKdS0_S0_PdS1_S1_PKiS3_i.num_vgpr, 24
	.set _Z19collect_final_forcePKdS0_S0_PdS1_S1_PKiS3_i.num_agpr, 0
	.set _Z19collect_final_forcePKdS0_S0_PdS1_S1_PKiS3_i.numbered_sgpr, 13
	.set _Z19collect_final_forcePKdS0_S0_PdS1_S1_PKiS3_i.num_named_barrier, 0
	.set _Z19collect_final_forcePKdS0_S0_PdS1_S1_PKiS3_i.private_seg_size, 0
	.set _Z19collect_final_forcePKdS0_S0_PdS1_S1_PKiS3_i.uses_vcc, 1
	.set _Z19collect_final_forcePKdS0_S0_PdS1_S1_PKiS3_i.uses_flat_scratch, 0
	.set _Z19collect_final_forcePKdS0_S0_PdS1_S1_PKiS3_i.has_dyn_sized_stack, 0
	.set _Z19collect_final_forcePKdS0_S0_PdS1_S1_PKiS3_i.has_recursion, 0
	.set _Z19collect_final_forcePKdS0_S0_PdS1_S1_PKiS3_i.has_indirect_call, 0
	.section	.AMDGPU.csdata,"",@progbits
; Kernel info:
; codeLenInByte = 396
; TotalNumSgprs: 19
; NumVgprs: 24
; NumAgprs: 0
; TotalNumVgprs: 24
; ScratchSize: 0
; MemoryBound: 0
; FloatMode: 240
; IeeeMode: 1
; LDSByteSize: 0 bytes/workgroup (compile time only)
; SGPRBlocks: 2
; VGPRBlocks: 2
; NumSGPRsForWavesPerEU: 19
; NumVGPRsForWavesPerEU: 24
; AccumOffset: 24
; Occupancy: 8
; WaveLimiterHint : 1
; COMPUTE_PGM_RSRC2:SCRATCH_EN: 0
; COMPUTE_PGM_RSRC2:USER_SGPR: 2
; COMPUTE_PGM_RSRC2:TRAP_HANDLER: 0
; COMPUTE_PGM_RSRC2:TGID_X_EN: 1
; COMPUTE_PGM_RSRC2:TGID_Y_EN: 0
; COMPUTE_PGM_RSRC2:TGID_Z_EN: 0
; COMPUTE_PGM_RSRC2:TIDIG_COMP_CNT: 0
; COMPUTE_PGM_RSRC3_GFX90A:ACCUM_OFFSET: 5
; COMPUTE_PGM_RSRC3_GFX90A:TG_SPLIT: 0
	.text
	.protected	_Z19accelerationForNodePKdS0_S0_S0_PdS1_S1_i ; -- Begin function _Z19accelerationForNodePKdS0_S0_S0_PdS1_S1_i
	.globl	_Z19accelerationForNodePKdS0_S0_S0_PdS1_S1_i
	.p2align	8
	.type	_Z19accelerationForNodePKdS0_S0_S0_PdS1_S1_i,@function
_Z19accelerationForNodePKdS0_S0_S0_PdS1_S1_i: ; @_Z19accelerationForNodePKdS0_S0_S0_PdS1_S1_i
; %bb.0:
	s_load_dword s3, s[0:1], 0x4c
	s_load_dword s4, s[0:1], 0x38
	s_waitcnt lgkmcnt(0)
	s_and_b32 s3, s3, 0xffff
	s_mul_i32 s2, s2, s3
	v_add_u32_e32 v0, s2, v0
	v_cmp_gt_i32_e32 vcc, s4, v0
	s_and_saveexec_b64 s[2:3], vcc
	s_cbranch_execz .LBB6_2
; %bb.1:
	s_load_dwordx8 s[4:11], s[0:1], 0x0
	v_ashrrev_i32_e32 v1, 31, v0
	v_lshlrev_b64 v[0:1], 3, v[0:1]
	s_waitcnt lgkmcnt(0)
	v_lshl_add_u64 v[2:3], s[10:11], 0, v[0:1]
	global_load_dwordx2 v[2:3], v[2:3], off
	v_lshl_add_u64 v[4:5], s[4:5], 0, v[0:1]
	v_lshl_add_u64 v[6:7], s[6:7], 0, v[0:1]
	;; [unrolled: 1-line block ×3, first 2 shown]
	global_load_dwordx2 v[10:11], v[4:5], off
	global_load_dwordx2 v[12:13], v[6:7], off
	;; [unrolled: 1-line block ×3, first 2 shown]
	s_load_dwordx4 s[4:7], s[0:1], 0x20
	s_load_dwordx2 s[2:3], s[0:1], 0x30
	s_waitcnt lgkmcnt(0)
	v_lshl_add_u64 v[4:5], s[4:5], 0, v[0:1]
	v_lshl_add_u64 v[6:7], s[6:7], 0, v[0:1]
	;; [unrolled: 1-line block ×3, first 2 shown]
	s_waitcnt vmcnt(3)
	v_div_scale_f64 v[8:9], s[0:1], v[2:3], v[2:3], 1.0
	v_rcp_f64_e32 v[16:17], v[8:9]
	v_div_scale_f64 v[18:19], vcc, 1.0, v[2:3], 1.0
	v_fma_f64 v[20:21], -v[8:9], v[16:17], 1.0
	v_fmac_f64_e32 v[16:17], v[16:17], v[20:21]
	v_fma_f64 v[20:21], -v[8:9], v[16:17], 1.0
	v_fmac_f64_e32 v[16:17], v[16:17], v[20:21]
	v_mul_f64 v[20:21], v[18:19], v[16:17]
	v_fma_f64 v[8:9], -v[8:9], v[20:21], v[18:19]
	v_div_fmas_f64 v[8:9], v[8:9], v[16:17], v[20:21]
	v_div_fixup_f64 v[2:3], v[8:9], v[2:3], 1.0
	s_waitcnt vmcnt(2)
	v_mul_f64 v[8:9], v[10:11], v[2:3]
	s_waitcnt vmcnt(1)
	v_mul_f64 v[10:11], v[2:3], v[12:13]
	;; [unrolled: 2-line block ×3, first 2 shown]
	global_store_dwordx2 v[4:5], v[8:9], off
	global_store_dwordx2 v[6:7], v[10:11], off
	;; [unrolled: 1-line block ×3, first 2 shown]
.LBB6_2:
	s_endpgm
	.section	.rodata,"a",@progbits
	.p2align	6, 0x0
	.amdhsa_kernel _Z19accelerationForNodePKdS0_S0_S0_PdS1_S1_i
		.amdhsa_group_segment_fixed_size 0
		.amdhsa_private_segment_fixed_size 0
		.amdhsa_kernarg_size 320
		.amdhsa_user_sgpr_count 2
		.amdhsa_user_sgpr_dispatch_ptr 0
		.amdhsa_user_sgpr_queue_ptr 0
		.amdhsa_user_sgpr_kernarg_segment_ptr 1
		.amdhsa_user_sgpr_dispatch_id 0
		.amdhsa_user_sgpr_kernarg_preload_length 0
		.amdhsa_user_sgpr_kernarg_preload_offset 0
		.amdhsa_user_sgpr_private_segment_size 0
		.amdhsa_uses_dynamic_stack 0
		.amdhsa_enable_private_segment 0
		.amdhsa_system_sgpr_workgroup_id_x 1
		.amdhsa_system_sgpr_workgroup_id_y 0
		.amdhsa_system_sgpr_workgroup_id_z 0
		.amdhsa_system_sgpr_workgroup_info 0
		.amdhsa_system_vgpr_workitem_id 0
		.amdhsa_next_free_vgpr 22
		.amdhsa_next_free_sgpr 12
		.amdhsa_accum_offset 24
		.amdhsa_reserve_vcc 1
		.amdhsa_float_round_mode_32 0
		.amdhsa_float_round_mode_16_64 0
		.amdhsa_float_denorm_mode_32 3
		.amdhsa_float_denorm_mode_16_64 3
		.amdhsa_dx10_clamp 1
		.amdhsa_ieee_mode 1
		.amdhsa_fp16_overflow 0
		.amdhsa_tg_split 0
		.amdhsa_exception_fp_ieee_invalid_op 0
		.amdhsa_exception_fp_denorm_src 0
		.amdhsa_exception_fp_ieee_div_zero 0
		.amdhsa_exception_fp_ieee_overflow 0
		.amdhsa_exception_fp_ieee_underflow 0
		.amdhsa_exception_fp_ieee_inexact 0
		.amdhsa_exception_int_div_zero 0
	.end_amdhsa_kernel
	.text
.Lfunc_end6:
	.size	_Z19accelerationForNodePKdS0_S0_S0_PdS1_S1_i, .Lfunc_end6-_Z19accelerationForNodePKdS0_S0_S0_PdS1_S1_i
                                        ; -- End function
	.set _Z19accelerationForNodePKdS0_S0_S0_PdS1_S1_i.num_vgpr, 22
	.set _Z19accelerationForNodePKdS0_S0_S0_PdS1_S1_i.num_agpr, 0
	.set _Z19accelerationForNodePKdS0_S0_S0_PdS1_S1_i.numbered_sgpr, 12
	.set _Z19accelerationForNodePKdS0_S0_S0_PdS1_S1_i.num_named_barrier, 0
	.set _Z19accelerationForNodePKdS0_S0_S0_PdS1_S1_i.private_seg_size, 0
	.set _Z19accelerationForNodePKdS0_S0_S0_PdS1_S1_i.uses_vcc, 1
	.set _Z19accelerationForNodePKdS0_S0_S0_PdS1_S1_i.uses_flat_scratch, 0
	.set _Z19accelerationForNodePKdS0_S0_S0_PdS1_S1_i.has_dyn_sized_stack, 0
	.set _Z19accelerationForNodePKdS0_S0_S0_PdS1_S1_i.has_recursion, 0
	.set _Z19accelerationForNodePKdS0_S0_S0_PdS1_S1_i.has_indirect_call, 0
	.section	.AMDGPU.csdata,"",@progbits
; Kernel info:
; codeLenInByte = 324
; TotalNumSgprs: 18
; NumVgprs: 22
; NumAgprs: 0
; TotalNumVgprs: 22
; ScratchSize: 0
; MemoryBound: 0
; FloatMode: 240
; IeeeMode: 1
; LDSByteSize: 0 bytes/workgroup (compile time only)
; SGPRBlocks: 2
; VGPRBlocks: 2
; NumSGPRsForWavesPerEU: 18
; NumVGPRsForWavesPerEU: 22
; AccumOffset: 24
; Occupancy: 8
; WaveLimiterHint : 0
; COMPUTE_PGM_RSRC2:SCRATCH_EN: 0
; COMPUTE_PGM_RSRC2:USER_SGPR: 2
; COMPUTE_PGM_RSRC2:TRAP_HANDLER: 0
; COMPUTE_PGM_RSRC2:TGID_X_EN: 1
; COMPUTE_PGM_RSRC2:TGID_Y_EN: 0
; COMPUTE_PGM_RSRC2:TGID_Z_EN: 0
; COMPUTE_PGM_RSRC2:TIDIG_COMP_CNT: 0
; COMPUTE_PGM_RSRC3_GFX90A:ACCUM_OFFSET: 5
; COMPUTE_PGM_RSRC3_GFX90A:TG_SPLIT: 0
	.text
	.protected	_Z43applyAccelerationBoundaryConditionsForNodesPKiS0_S0_PdS1_S1_iiii ; -- Begin function _Z43applyAccelerationBoundaryConditionsForNodesPKiS0_S0_PdS1_S1_iiii
	.globl	_Z43applyAccelerationBoundaryConditionsForNodesPKiS0_S0_PdS1_S1_iiii
	.p2align	8
	.type	_Z43applyAccelerationBoundaryConditionsForNodesPKiS0_S0_PdS1_S1_iiii,@function
_Z43applyAccelerationBoundaryConditionsForNodesPKiS0_S0_PdS1_S1_iiii: ; @_Z43applyAccelerationBoundaryConditionsForNodesPKiS0_S0_PdS1_S1_iiii
; %bb.0:
	s_load_dword s3, s[0:1], 0x4c
	s_load_dwordx4 s[4:7], s[0:1], 0x30
	s_waitcnt lgkmcnt(0)
	s_and_b32 s3, s3, 0xffff
	s_mul_i32 s2, s2, s3
	v_add_u32_e32 v0, s2, v0
	v_cmp_gt_i32_e32 vcc, s7, v0
	s_and_saveexec_b64 s[2:3], vcc
	s_cbranch_execz .LBB7_4
; %bb.1:
	s_cmp_lg_u32 s4, 0
	s_cbranch_scc0 .LBB7_5
; %bb.2:
	s_cmp_lg_u32 s5, 0
	s_cbranch_scc0 .LBB7_6
.LBB7_3:
	s_cmp_lg_u32 s6, 0
	s_cbranch_scc0 .LBB7_7
.LBB7_4:
	s_endpgm
.LBB7_5:
	s_load_dwordx2 s[2:3], s[0:1], 0x0
	s_load_dwordx2 s[8:9], s[0:1], 0x18
	v_ashrrev_i32_e32 v1, 31, v0
	v_mov_b32_e32 v4, 0
	v_mov_b32_e32 v5, v4
	s_waitcnt lgkmcnt(0)
	v_lshl_add_u64 v[2:3], v[0:1], 2, s[2:3]
	global_load_dword v2, v[2:3], off
	s_waitcnt vmcnt(0)
	v_ashrrev_i32_e32 v3, 31, v2
	v_lshl_add_u64 v[2:3], v[2:3], 3, s[8:9]
	global_store_dwordx2 v[2:3], v[4:5], off
	s_cmp_lg_u32 s5, 0
	s_cbranch_scc1 .LBB7_3
.LBB7_6:
	s_load_dwordx2 s[2:3], s[0:1], 0x8
	s_load_dwordx2 s[4:5], s[0:1], 0x20
	v_ashrrev_i32_e32 v1, 31, v0
	v_mov_b32_e32 v4, 0
	v_mov_b32_e32 v5, v4
	s_waitcnt lgkmcnt(0)
	v_lshl_add_u64 v[2:3], v[0:1], 2, s[2:3]
	global_load_dword v2, v[2:3], off
	s_waitcnt vmcnt(0)
	v_ashrrev_i32_e32 v3, 31, v2
	v_lshl_add_u64 v[2:3], v[2:3], 3, s[4:5]
	global_store_dwordx2 v[2:3], v[4:5], off
	s_cmp_lg_u32 s6, 0
	s_cbranch_scc1 .LBB7_4
.LBB7_7:
	s_load_dwordx2 s[2:3], s[0:1], 0x10
	s_load_dwordx2 s[4:5], s[0:1], 0x28
	v_ashrrev_i32_e32 v1, 31, v0
	v_mov_b32_e32 v2, 0
	v_mov_b32_e32 v3, v2
	s_waitcnt lgkmcnt(0)
	v_lshl_add_u64 v[0:1], v[0:1], 2, s[2:3]
	global_load_dword v0, v[0:1], off
	s_waitcnt vmcnt(0)
	v_ashrrev_i32_e32 v1, 31, v0
	v_lshl_add_u64 v[0:1], v[0:1], 3, s[4:5]
	global_store_dwordx2 v[0:1], v[2:3], off
	s_endpgm
	.section	.rodata,"a",@progbits
	.p2align	6, 0x0
	.amdhsa_kernel _Z43applyAccelerationBoundaryConditionsForNodesPKiS0_S0_PdS1_S1_iiii
		.amdhsa_group_segment_fixed_size 0
		.amdhsa_private_segment_fixed_size 0
		.amdhsa_kernarg_size 320
		.amdhsa_user_sgpr_count 2
		.amdhsa_user_sgpr_dispatch_ptr 0
		.amdhsa_user_sgpr_queue_ptr 0
		.amdhsa_user_sgpr_kernarg_segment_ptr 1
		.amdhsa_user_sgpr_dispatch_id 0
		.amdhsa_user_sgpr_kernarg_preload_length 0
		.amdhsa_user_sgpr_kernarg_preload_offset 0
		.amdhsa_user_sgpr_private_segment_size 0
		.amdhsa_uses_dynamic_stack 0
		.amdhsa_enable_private_segment 0
		.amdhsa_system_sgpr_workgroup_id_x 1
		.amdhsa_system_sgpr_workgroup_id_y 0
		.amdhsa_system_sgpr_workgroup_id_z 0
		.amdhsa_system_sgpr_workgroup_info 0
		.amdhsa_system_vgpr_workitem_id 0
		.amdhsa_next_free_vgpr 6
		.amdhsa_next_free_sgpr 10
		.amdhsa_accum_offset 8
		.amdhsa_reserve_vcc 1
		.amdhsa_float_round_mode_32 0
		.amdhsa_float_round_mode_16_64 0
		.amdhsa_float_denorm_mode_32 3
		.amdhsa_float_denorm_mode_16_64 3
		.amdhsa_dx10_clamp 1
		.amdhsa_ieee_mode 1
		.amdhsa_fp16_overflow 0
		.amdhsa_tg_split 0
		.amdhsa_exception_fp_ieee_invalid_op 0
		.amdhsa_exception_fp_denorm_src 0
		.amdhsa_exception_fp_ieee_div_zero 0
		.amdhsa_exception_fp_ieee_overflow 0
		.amdhsa_exception_fp_ieee_underflow 0
		.amdhsa_exception_fp_ieee_inexact 0
		.amdhsa_exception_int_div_zero 0
	.end_amdhsa_kernel
	.text
.Lfunc_end7:
	.size	_Z43applyAccelerationBoundaryConditionsForNodesPKiS0_S0_PdS1_S1_iiii, .Lfunc_end7-_Z43applyAccelerationBoundaryConditionsForNodesPKiS0_S0_PdS1_S1_iiii
                                        ; -- End function
	.set _Z43applyAccelerationBoundaryConditionsForNodesPKiS0_S0_PdS1_S1_iiii.num_vgpr, 6
	.set _Z43applyAccelerationBoundaryConditionsForNodesPKiS0_S0_PdS1_S1_iiii.num_agpr, 0
	.set _Z43applyAccelerationBoundaryConditionsForNodesPKiS0_S0_PdS1_S1_iiii.numbered_sgpr, 10
	.set _Z43applyAccelerationBoundaryConditionsForNodesPKiS0_S0_PdS1_S1_iiii.num_named_barrier, 0
	.set _Z43applyAccelerationBoundaryConditionsForNodesPKiS0_S0_PdS1_S1_iiii.private_seg_size, 0
	.set _Z43applyAccelerationBoundaryConditionsForNodesPKiS0_S0_PdS1_S1_iiii.uses_vcc, 1
	.set _Z43applyAccelerationBoundaryConditionsForNodesPKiS0_S0_PdS1_S1_iiii.uses_flat_scratch, 0
	.set _Z43applyAccelerationBoundaryConditionsForNodesPKiS0_S0_PdS1_S1_iiii.has_dyn_sized_stack, 0
	.set _Z43applyAccelerationBoundaryConditionsForNodesPKiS0_S0_PdS1_S1_iiii.has_recursion, 0
	.set _Z43applyAccelerationBoundaryConditionsForNodesPKiS0_S0_PdS1_S1_iiii.has_indirect_call, 0
	.section	.AMDGPU.csdata,"",@progbits
; Kernel info:
; codeLenInByte = 312
; TotalNumSgprs: 16
; NumVgprs: 6
; NumAgprs: 0
; TotalNumVgprs: 6
; ScratchSize: 0
; MemoryBound: 0
; FloatMode: 240
; IeeeMode: 1
; LDSByteSize: 0 bytes/workgroup (compile time only)
; SGPRBlocks: 1
; VGPRBlocks: 0
; NumSGPRsForWavesPerEU: 16
; NumVGPRsForWavesPerEU: 6
; AccumOffset: 8
; Occupancy: 8
; WaveLimiterHint : 1
; COMPUTE_PGM_RSRC2:SCRATCH_EN: 0
; COMPUTE_PGM_RSRC2:USER_SGPR: 2
; COMPUTE_PGM_RSRC2:TRAP_HANDLER: 0
; COMPUTE_PGM_RSRC2:TGID_X_EN: 1
; COMPUTE_PGM_RSRC2:TGID_Y_EN: 0
; COMPUTE_PGM_RSRC2:TGID_Z_EN: 0
; COMPUTE_PGM_RSRC2:TIDIG_COMP_CNT: 0
; COMPUTE_PGM_RSRC3_GFX90A:ACCUM_OFFSET: 1
; COMPUTE_PGM_RSRC3_GFX90A:TG_SPLIT: 0
	.text
	.protected	_Z20calcVelocityForNodesPdS_S_PKdS1_S1_ddi ; -- Begin function _Z20calcVelocityForNodesPdS_S_PKdS1_S1_ddi
	.globl	_Z20calcVelocityForNodesPdS_S_PKdS1_S1_ddi
	.p2align	8
	.type	_Z20calcVelocityForNodesPdS_S_PKdS1_S1_ddi,@function
_Z20calcVelocityForNodesPdS_S_PKdS1_S1_ddi: ; @_Z20calcVelocityForNodesPdS_S_PKdS1_S1_ddi
; %bb.0:
	s_load_dword s3, s[0:1], 0x54
	s_load_dword s4, s[0:1], 0x40
	s_waitcnt lgkmcnt(0)
	s_and_b32 s3, s3, 0xffff
	s_mul_i32 s2, s2, s3
	v_add_u32_e32 v0, s2, v0
	v_cmp_gt_i32_e32 vcc, s4, v0
	s_and_saveexec_b64 s[2:3], vcc
	s_cbranch_execz .LBB8_2
; %bb.1:
	s_load_dwordx8 s[12:19], s[0:1], 0x0
	s_load_dwordx8 s[4:11], s[0:1], 0x20
	v_ashrrev_i32_e32 v1, 31, v0
	v_lshlrev_b64 v[0:1], 3, v[0:1]
	s_waitcnt lgkmcnt(0)
	v_lshl_add_u64 v[2:3], s[12:13], 0, v[0:1]
	v_lshl_add_u64 v[4:5], s[18:19], 0, v[0:1]
	global_load_dwordx2 v[6:7], v[2:3], off
	global_load_dwordx2 v[8:9], v[4:5], off
	v_lshl_add_u64 v[4:5], s[14:15], 0, v[0:1]
	v_lshl_add_u64 v[12:13], s[4:5], 0, v[0:1]
	;; [unrolled: 1-line block ×4, first 2 shown]
	global_load_dwordx2 v[10:11], v[4:5], off
	global_load_dwordx2 v[16:17], v[14:15], off
	s_waitcnt vmcnt(2)
	v_fmac_f64_e32 v[6:7], s[8:9], v[8:9]
	global_load_dwordx2 v[12:13], v[12:13], off
	v_cmp_nlt_f64_e64 vcc, |v[6:7]|, s[10:11]
	global_load_dwordx2 v[0:1], v[0:1], off
	s_waitcnt vmcnt(1)
	v_fmac_f64_e32 v[10:11], s[8:9], v[12:13]
	v_cmp_nlt_f64_e64 s[0:1], |v[10:11]|, s[10:11]
	s_waitcnt vmcnt(0)
	v_fmac_f64_e32 v[16:17], s[8:9], v[0:1]
	v_cndmask_b32_e32 v1, 0, v7, vcc
	v_cmp_nlt_f64_e64 s[2:3], |v[16:17]|, s[10:11]
	v_cndmask_b32_e32 v0, 0, v6, vcc
	v_cndmask_b32_e64 v7, 0, v11, s[0:1]
	v_cndmask_b32_e64 v9, 0, v17, s[2:3]
	;; [unrolled: 1-line block ×4, first 2 shown]
	global_store_dwordx2 v[2:3], v[0:1], off
	global_store_dwordx2 v[4:5], v[6:7], off
	;; [unrolled: 1-line block ×3, first 2 shown]
.LBB8_2:
	s_endpgm
	.section	.rodata,"a",@progbits
	.p2align	6, 0x0
	.amdhsa_kernel _Z20calcVelocityForNodesPdS_S_PKdS1_S1_ddi
		.amdhsa_group_segment_fixed_size 0
		.amdhsa_private_segment_fixed_size 0
		.amdhsa_kernarg_size 328
		.amdhsa_user_sgpr_count 2
		.amdhsa_user_sgpr_dispatch_ptr 0
		.amdhsa_user_sgpr_queue_ptr 0
		.amdhsa_user_sgpr_kernarg_segment_ptr 1
		.amdhsa_user_sgpr_dispatch_id 0
		.amdhsa_user_sgpr_kernarg_preload_length 0
		.amdhsa_user_sgpr_kernarg_preload_offset 0
		.amdhsa_user_sgpr_private_segment_size 0
		.amdhsa_uses_dynamic_stack 0
		.amdhsa_enable_private_segment 0
		.amdhsa_system_sgpr_workgroup_id_x 1
		.amdhsa_system_sgpr_workgroup_id_y 0
		.amdhsa_system_sgpr_workgroup_id_z 0
		.amdhsa_system_sgpr_workgroup_info 0
		.amdhsa_system_vgpr_workitem_id 0
		.amdhsa_next_free_vgpr 18
		.amdhsa_next_free_sgpr 20
		.amdhsa_accum_offset 20
		.amdhsa_reserve_vcc 1
		.amdhsa_float_round_mode_32 0
		.amdhsa_float_round_mode_16_64 0
		.amdhsa_float_denorm_mode_32 3
		.amdhsa_float_denorm_mode_16_64 3
		.amdhsa_dx10_clamp 1
		.amdhsa_ieee_mode 1
		.amdhsa_fp16_overflow 0
		.amdhsa_tg_split 0
		.amdhsa_exception_fp_ieee_invalid_op 0
		.amdhsa_exception_fp_denorm_src 0
		.amdhsa_exception_fp_ieee_div_zero 0
		.amdhsa_exception_fp_ieee_overflow 0
		.amdhsa_exception_fp_ieee_underflow 0
		.amdhsa_exception_fp_ieee_inexact 0
		.amdhsa_exception_int_div_zero 0
	.end_amdhsa_kernel
	.text
.Lfunc_end8:
	.size	_Z20calcVelocityForNodesPdS_S_PKdS1_S1_ddi, .Lfunc_end8-_Z20calcVelocityForNodesPdS_S_PKdS1_S1_ddi
                                        ; -- End function
	.set _Z20calcVelocityForNodesPdS_S_PKdS1_S1_ddi.num_vgpr, 18
	.set _Z20calcVelocityForNodesPdS_S_PKdS1_S1_ddi.num_agpr, 0
	.set _Z20calcVelocityForNodesPdS_S_PKdS1_S1_ddi.numbered_sgpr, 20
	.set _Z20calcVelocityForNodesPdS_S_PKdS1_S1_ddi.num_named_barrier, 0
	.set _Z20calcVelocityForNodesPdS_S_PKdS1_S1_ddi.private_seg_size, 0
	.set _Z20calcVelocityForNodesPdS_S_PKdS1_S1_ddi.uses_vcc, 1
	.set _Z20calcVelocityForNodesPdS_S_PKdS1_S1_ddi.uses_flat_scratch, 0
	.set _Z20calcVelocityForNodesPdS_S_PKdS1_S1_ddi.has_dyn_sized_stack, 0
	.set _Z20calcVelocityForNodesPdS_S_PKdS1_S1_ddi.has_recursion, 0
	.set _Z20calcVelocityForNodesPdS_S_PKdS1_S1_ddi.has_indirect_call, 0
	.section	.AMDGPU.csdata,"",@progbits
; Kernel info:
; codeLenInByte = 292
; TotalNumSgprs: 26
; NumVgprs: 18
; NumAgprs: 0
; TotalNumVgprs: 18
; ScratchSize: 0
; MemoryBound: 0
; FloatMode: 240
; IeeeMode: 1
; LDSByteSize: 0 bytes/workgroup (compile time only)
; SGPRBlocks: 3
; VGPRBlocks: 2
; NumSGPRsForWavesPerEU: 26
; NumVGPRsForWavesPerEU: 18
; AccumOffset: 20
; Occupancy: 8
; WaveLimiterHint : 0
; COMPUTE_PGM_RSRC2:SCRATCH_EN: 0
; COMPUTE_PGM_RSRC2:USER_SGPR: 2
; COMPUTE_PGM_RSRC2:TRAP_HANDLER: 0
; COMPUTE_PGM_RSRC2:TGID_X_EN: 1
; COMPUTE_PGM_RSRC2:TGID_Y_EN: 0
; COMPUTE_PGM_RSRC2:TGID_Z_EN: 0
; COMPUTE_PGM_RSRC2:TIDIG_COMP_CNT: 0
; COMPUTE_PGM_RSRC3_GFX90A:ACCUM_OFFSET: 4
; COMPUTE_PGM_RSRC3_GFX90A:TG_SPLIT: 0
	.text
	.protected	_Z20calcPositionForNodesPdS_S_PKdS1_S1_di ; -- Begin function _Z20calcPositionForNodesPdS_S_PKdS1_S1_di
	.globl	_Z20calcPositionForNodesPdS_S_PKdS1_S1_di
	.p2align	8
	.type	_Z20calcPositionForNodesPdS_S_PKdS1_S1_di,@function
_Z20calcPositionForNodesPdS_S_PKdS1_S1_di: ; @_Z20calcPositionForNodesPdS_S_PKdS1_S1_di
; %bb.0:
	s_load_dword s3, s[0:1], 0x4c
	s_load_dword s4, s[0:1], 0x38
	s_waitcnt lgkmcnt(0)
	s_and_b32 s3, s3, 0xffff
	s_mul_i32 s2, s2, s3
	v_add_u32_e32 v0, s2, v0
	v_cmp_gt_i32_e32 vcc, s4, v0
	s_and_saveexec_b64 s[2:3], vcc
	s_cbranch_execz .LBB9_2
; %bb.1:
	s_load_dwordx8 s[4:11], s[0:1], 0x0
	s_load_dwordx4 s[12:15], s[0:1], 0x20
	s_load_dwordx2 s[2:3], s[0:1], 0x30
	v_ashrrev_i32_e32 v1, 31, v0
	v_lshlrev_b64 v[0:1], 3, v[0:1]
	s_waitcnt lgkmcnt(0)
	v_lshl_add_u64 v[2:3], s[10:11], 0, v[0:1]
	v_lshl_add_u64 v[4:5], s[4:5], 0, v[0:1]
	global_load_dwordx2 v[2:3], v[2:3], off
	v_lshl_add_u64 v[8:9], s[12:13], 0, v[0:1]
	global_load_dwordx2 v[6:7], v[4:5], off
	v_lshl_add_u64 v[10:11], s[6:7], 0, v[0:1]
	v_lshl_add_u64 v[14:15], s[14:15], 0, v[0:1]
	;; [unrolled: 1-line block ×3, first 2 shown]
	global_load_dwordx2 v[8:9], v[8:9], off
	s_waitcnt vmcnt(1)
	v_fmac_f64_e32 v[6:7], s[2:3], v[2:3]
	global_load_dwordx2 v[12:13], v[10:11], off
	global_load_dwordx2 v[16:17], v[0:1], off
	s_waitcnt vmcnt(1)
	v_fmac_f64_e32 v[12:13], s[2:3], v[8:9]
	global_load_dwordx2 v[14:15], v[14:15], off
	s_waitcnt vmcnt(0)
	v_fmac_f64_e32 v[16:17], s[2:3], v[14:15]
	global_store_dwordx2 v[4:5], v[6:7], off
	global_store_dwordx2 v[10:11], v[12:13], off
	global_store_dwordx2 v[0:1], v[16:17], off
.LBB9_2:
	s_endpgm
	.section	.rodata,"a",@progbits
	.p2align	6, 0x0
	.amdhsa_kernel _Z20calcPositionForNodesPdS_S_PKdS1_S1_di
		.amdhsa_group_segment_fixed_size 0
		.amdhsa_private_segment_fixed_size 0
		.amdhsa_kernarg_size 320
		.amdhsa_user_sgpr_count 2
		.amdhsa_user_sgpr_dispatch_ptr 0
		.amdhsa_user_sgpr_queue_ptr 0
		.amdhsa_user_sgpr_kernarg_segment_ptr 1
		.amdhsa_user_sgpr_dispatch_id 0
		.amdhsa_user_sgpr_kernarg_preload_length 0
		.amdhsa_user_sgpr_kernarg_preload_offset 0
		.amdhsa_user_sgpr_private_segment_size 0
		.amdhsa_uses_dynamic_stack 0
		.amdhsa_enable_private_segment 0
		.amdhsa_system_sgpr_workgroup_id_x 1
		.amdhsa_system_sgpr_workgroup_id_y 0
		.amdhsa_system_sgpr_workgroup_id_z 0
		.amdhsa_system_sgpr_workgroup_info 0
		.amdhsa_system_vgpr_workitem_id 0
		.amdhsa_next_free_vgpr 18
		.amdhsa_next_free_sgpr 16
		.amdhsa_accum_offset 20
		.amdhsa_reserve_vcc 1
		.amdhsa_float_round_mode_32 0
		.amdhsa_float_round_mode_16_64 0
		.amdhsa_float_denorm_mode_32 3
		.amdhsa_float_denorm_mode_16_64 3
		.amdhsa_dx10_clamp 1
		.amdhsa_ieee_mode 1
		.amdhsa_fp16_overflow 0
		.amdhsa_tg_split 0
		.amdhsa_exception_fp_ieee_invalid_op 0
		.amdhsa_exception_fp_denorm_src 0
		.amdhsa_exception_fp_ieee_div_zero 0
		.amdhsa_exception_fp_ieee_overflow 0
		.amdhsa_exception_fp_ieee_underflow 0
		.amdhsa_exception_fp_ieee_inexact 0
		.amdhsa_exception_int_div_zero 0
	.end_amdhsa_kernel
	.text
.Lfunc_end9:
	.size	_Z20calcPositionForNodesPdS_S_PKdS1_S1_di, .Lfunc_end9-_Z20calcPositionForNodesPdS_S_PKdS1_S1_di
                                        ; -- End function
	.set _Z20calcPositionForNodesPdS_S_PKdS1_S1_di.num_vgpr, 18
	.set _Z20calcPositionForNodesPdS_S_PKdS1_S1_di.num_agpr, 0
	.set _Z20calcPositionForNodesPdS_S_PKdS1_S1_di.numbered_sgpr, 16
	.set _Z20calcPositionForNodesPdS_S_PKdS1_S1_di.num_named_barrier, 0
	.set _Z20calcPositionForNodesPdS_S_PKdS1_S1_di.private_seg_size, 0
	.set _Z20calcPositionForNodesPdS_S_PKdS1_S1_di.uses_vcc, 1
	.set _Z20calcPositionForNodesPdS_S_PKdS1_S1_di.uses_flat_scratch, 0
	.set _Z20calcPositionForNodesPdS_S_PKdS1_S1_di.has_dyn_sized_stack, 0
	.set _Z20calcPositionForNodesPdS_S_PKdS1_S1_di.has_recursion, 0
	.set _Z20calcPositionForNodesPdS_S_PKdS1_S1_di.has_indirect_call, 0
	.section	.AMDGPU.csdata,"",@progbits
; Kernel info:
; codeLenInByte = 236
; TotalNumSgprs: 22
; NumVgprs: 18
; NumAgprs: 0
; TotalNumVgprs: 18
; ScratchSize: 0
; MemoryBound: 0
; FloatMode: 240
; IeeeMode: 1
; LDSByteSize: 0 bytes/workgroup (compile time only)
; SGPRBlocks: 2
; VGPRBlocks: 2
; NumSGPRsForWavesPerEU: 22
; NumVGPRsForWavesPerEU: 18
; AccumOffset: 20
; Occupancy: 8
; WaveLimiterHint : 0
; COMPUTE_PGM_RSRC2:SCRATCH_EN: 0
; COMPUTE_PGM_RSRC2:USER_SGPR: 2
; COMPUTE_PGM_RSRC2:TRAP_HANDLER: 0
; COMPUTE_PGM_RSRC2:TGID_X_EN: 1
; COMPUTE_PGM_RSRC2:TGID_Y_EN: 0
; COMPUTE_PGM_RSRC2:TGID_Z_EN: 0
; COMPUTE_PGM_RSRC2:TIDIG_COMP_CNT: 0
; COMPUTE_PGM_RSRC3_GFX90A:ACCUM_OFFSET: 4
; COMPUTE_PGM_RSRC3_GFX90A:TG_SPLIT: 0
	.text
	.protected	_Z22calcKinematicsForElemsPKdS0_S0_S0_S0_S0_PKiS0_S0_PdS3_S3_S3_S3_S3_di ; -- Begin function _Z22calcKinematicsForElemsPKdS0_S0_S0_S0_S0_PKiS0_S0_PdS3_S3_S3_S3_S3_di
	.globl	_Z22calcKinematicsForElemsPKdS0_S0_S0_S0_S0_PKiS0_S0_PdS3_S3_S3_S3_S3_di
	.p2align	8
	.type	_Z22calcKinematicsForElemsPKdS0_S0_S0_S0_S0_PKiS0_S0_PdS3_S3_S3_S3_S3_di,@function
_Z22calcKinematicsForElemsPKdS0_S0_S0_S0_S0_PKiS0_S0_PdS3_S3_S3_S3_S3_di: ; @_Z22calcKinematicsForElemsPKdS0_S0_S0_S0_S0_PKiS0_S0_PdS3_S3_S3_S3_S3_di
; %bb.0:
	s_load_dword s3, s[0:1], 0x94
	s_load_dword s4, s[0:1], 0x80
	s_waitcnt lgkmcnt(0)
	s_and_b32 s3, s3, 0xffff
	s_mul_i32 s2, s2, s3
	v_add_u32_e32 v36, s2, v0
	v_cmp_gt_i32_e32 vcc, s4, v36
	s_and_saveexec_b64 s[2:3], vcc
	s_cbranch_execz .LBB10_2
; %bb.1:
	s_load_dwordx8 s[12:19], s[0:1], 0x20
	v_lshlrev_b32_e32 v0, 3, v36
	v_ashrrev_i32_e32 v1, 31, v0
	s_load_dwordx8 s[4:11], s[0:1], 0x0
	v_ashrrev_i32_e32 v37, 31, v36
	s_waitcnt lgkmcnt(0)
	v_lshl_add_u64 v[12:13], v[0:1], 2, s[16:17]
	global_load_dwordx2 v[14:15], v[12:13], off
	global_load_dwordx4 v[0:3], v[12:13], off
	global_load_dwordx4 v[4:7], v[12:13], off offset:16
	global_load_dwordx4 v[8:11], v[12:13], off offset:8
	v_lshlrev_b64 v[36:37], 3, v[36:37]
	s_mov_b32 s2, 0x55555555
	s_mov_b32 s3, 0x3fb55555
	s_waitcnt vmcnt(3)
	v_ashrrev_i32_e32 v17, 31, v14
	v_mov_b32_e32 v16, v14
	v_ashrrev_i32_e32 v19, 31, v15
	v_mov_b32_e32 v18, v15
	s_waitcnt vmcnt(2)
	v_ashrrev_i32_e32 v15, 31, v2
	v_mov_b32_e32 v14, v2
	v_ashrrev_i32_e32 v21, 31, v3
	v_mov_b32_e32 v20, v3
	;; [unrolled: 5-line block ×4, first 2 shown]
	v_lshlrev_b64 v[10:11], 3, v[16:17]
	v_lshlrev_b64 v[54:55], 3, v[18:19]
	;; [unrolled: 1-line block ×8, first 2 shown]
	v_lshl_add_u64 v[6:7], s[10:11], 0, v[10:11]
	v_lshl_add_u64 v[22:23], s[10:11], 0, v[14:15]
	;; [unrolled: 1-line block ×20, first 2 shown]
	global_load_dwordx2 v[20:21], v[6:7], off
	global_load_dwordx2 v[14:15], v[22:23], off
	;; [unrolled: 1-line block ×4, first 2 shown]
                                        ; kill: killed $vgpr6_vgpr7
                                        ; kill: killed $vgpr24_vgpr25
                                        ; kill: killed $vgpr22_vgpr23
                                        ; kill: killed $vgpr26_vgpr27
	global_load_dwordx2 v[28:29], v[30:31], off
	s_nop 0
	global_load_dwordx2 v[22:23], v[32:33], off
	global_load_dwordx2 v[18:19], v[16:17], off
	;; [unrolled: 1-line block ×3, first 2 shown]
                                        ; kill: killed $vgpr30_vgpr31
                                        ; kill: killed $vgpr34_vgpr35
                                        ; kill: killed $vgpr16_vgpr17
                                        ; kill: killed $vgpr32_vgpr33
	s_nop 0
	global_load_dwordx2 v[34:35], v[40:41], off
	global_load_dwordx2 v[32:33], v[42:43], off
	;; [unrolled: 1-line block ×4, first 2 shown]
                                        ; kill: killed $vgpr42_vgpr43
                                        ; kill: killed $vgpr40_vgpr41
                                        ; kill: killed $vgpr46_vgpr47
                                        ; kill: killed $vgpr44_vgpr45
	global_load_dwordx2 v[24:25], v[52:53], off
	s_nop 0
	global_load_dwordx2 v[46:47], v[56:57], off
	global_load_dwordx2 v[44:45], v[48:49], off
	global_load_dwordx2 v[26:27], v[50:51], off
                                        ; kill: killed $vgpr56_vgpr57
                                        ; kill: killed $vgpr52_vgpr53
                                        ; kill: killed $vgpr50_vgpr51
                                        ; kill: killed $vgpr48_vgpr49
	global_load_dwordx2 v[42:43], v[62:63], off
	global_load_dwordx2 v[40:41], v[64:65], off
	v_lshl_add_u64 v[52:53], s[14:15], 0, v[38:39]
	global_load_dwordx2 v[38:39], v[60:61], off
	global_load_dwordx2 v[50:51], v[66:67], off
	;; [unrolled: 1-line block ×3, first 2 shown]
	v_lshl_add_u64 v[52:53], s[10:11], 0, v[58:59]
	v_lshl_add_u64 v[54:55], s[14:15], 0, v[54:55]
	global_load_dwordx2 v[52:53], v[52:53], off
	s_waitcnt vmcnt(18)
	v_add_f64 v[76:77], v[2:3], -v[10:11]
	global_load_dwordx2 v[56:57], v[54:55], off
	v_lshl_add_u64 v[54:55], s[14:15], 0, v[58:59]
	global_load_dwordx2 v[54:55], v[54:55], off
	v_add_f64 v[58:59], v[14:15], -v[20:21]
	global_load_dwordx2 v[12:13], v[12:13], off offset:24
	s_waitcnt vmcnt(19)
	v_add_f64 v[60:61], v[22:23], -v[28:29]
	v_mul_f64 v[92:93], v[76:77], v[60:61]
	s_waitcnt vmcnt(17)
	v_add_f64 v[74:75], v[6:7], -v[18:19]
	v_fma_f64 v[92:93], v[58:59], v[74:75], -v[92:93]
	s_waitcnt vmcnt(14)
	v_add_f64 v[62:63], v[30:31], -v[34:35]
	s_waitcnt vmcnt(13)
	v_add_f64 v[78:79], v[16:17], -v[32:33]
	v_add_f64 v[98:99], v[62:63], v[78:79]
	v_mul_f64 v[118:119], v[98:99], v[92:93]
	s_waitcnt vmcnt(12)
	v_add_f64 v[80:81], v[24:25], -v[30:31]
	s_waitcnt vmcnt(11)
	v_add_f64 v[106:107], v[32:33], -v[46:47]
	;; [unrolled: 2-line block ×4, first 2 shown]
	v_mul_f64 v[100:101], v[106:107], v[74:75]
	v_add_f64 v[92:93], v[108:109], v[82:83]
	v_fma_f64 v[98:99], v[80:81], v[60:61], -v[100:101]
	v_add_f64 v[68:69], v[26:27], -v[20:21]
	s_waitcnt vmcnt(8)
	v_add_f64 v[64:65], v[42:43], -v[30:31]
	s_waitcnt vmcnt(6)
	;; [unrolled: 2-line block ×3, first 2 shown]
	v_add_f64 v[102:103], v[2:3], -v[50:51]
	v_add_f64 v[86:87], v[40:41], -v[16:17]
	s_waitcnt vmcnt(4)
	v_add_f64 v[94:95], v[6:7], -v[48:49]
	v_fmac_f64_e32 v[118:119], v[92:93], v[98:99]
	v_mul_f64 v[92:93], v[102:103], v[66:67]
	v_add_f64 v[70:71], v[16:17], -v[46:47]
	v_add_f64 v[86:87], v[64:65], v[86:87]
	v_fma_f64 v[92:93], v[68:69], v[94:95], -v[92:93]
	v_add_f64 v[72:73], v[50:51], -v[10:11]
	s_waitcnt vmcnt(3)
	v_add_f64 v[90:91], v[52:53], -v[26:27]
	v_add_f64 v[104:105], v[24:25], -v[42:43]
	v_mul_f64 v[120:121], v[86:87], v[92:93]
	v_mul_f64 v[86:87], v[70:71], v[94:95]
	v_add_f64 v[110:111], v[44:45], -v[50:51]
	v_add_f64 v[112:113], v[14:15], -v[52:53]
	v_add_f64 v[88:89], v[2:3], -v[44:45]
	v_add_f64 v[90:91], v[72:73], v[90:91]
	v_fma_f64 v[86:87], v[104:105], v[66:67], -v[86:87]
	v_add_f64 v[114:115], v[34:35], -v[42:43]
	v_add_f64 v[116:117], v[32:33], -v[40:41]
	;; [unrolled: 1-line block ×3, first 2 shown]
	v_fmac_f64_e32 v[120:121], v[90:91], v[86:87]
	v_add_f64 v[86:87], v[110:111], v[112:113]
	v_add_f64 v[100:101], v[40:41], -v[46:47]
	v_add_f64 v[90:91], v[114:115], v[116:117]
	v_add_f64 v[92:93], v[24:25], -v[34:35]
	v_mul_f64 v[116:117], v[68:69], v[104:105]
	v_fma_f64 v[116:117], v[102:103], v[70:71], -v[116:117]
	s_waitcnt vmcnt(2)
	v_add_f64 v[84:85], v[6:7], -v[56:57]
	v_add_f64 v[110:111], v[18:19], -v[56:57]
	s_waitcnt vmcnt(1)
	v_add_f64 v[98:99], v[54:55], -v[28:29]
	v_mul_f64 v[112:113], v[88:89], v[98:99]
	v_fma_f64 v[112:113], v[96:97], v[84:85], -v[112:113]
	v_mul_f64 v[112:113], v[90:91], v[112:113]
	v_mul_f64 v[90:91], v[100:101], v[84:85]
	v_fma_f64 v[90:91], v[92:93], v[98:99], -v[90:91]
	v_fmac_f64_e32 v[112:113], v[86:87], v[90:91]
	v_add_f64 v[90:91], v[38:39], -v[22:23]
	v_mul_f64 v[86:87], v[58:59], v[80:81]
	v_fma_f64 v[86:87], v[76:77], v[106:107], -v[86:87]
	v_add_f64 v[114:115], v[110:111], v[90:91]
	v_fmac_f64_e32 v[118:119], v[86:87], v[114:115]
	v_add_f64 v[86:87], v[48:49], -v[18:19]
	v_add_f64 v[114:115], v[54:55], -v[38:39]
	v_add_f64 v[114:115], v[86:87], v[114:115]
	v_fmac_f64_e32 v[120:121], v[116:117], v[114:115]
	v_add_f64 v[114:115], v[56:57], -v[48:49]
	v_add_f64 v[116:117], v[22:23], -v[54:55]
	v_add_f64 v[114:115], v[114:115], v[116:117]
	v_mul_f64 v[116:117], v[96:97], v[92:93]
	v_fma_f64 v[116:117], v[88:89], v[100:101], -v[116:117]
	v_fmac_f64_e32 v[112:113], v[116:117], v[114:115]
	v_add_f64 v[114:115], v[58:59], -v[108:109]
	v_add_f64 v[58:59], v[58:59], v[108:109]
	v_add_f64 v[108:109], v[106:107], -v[62:63]
	v_add_f64 v[62:63], v[106:107], v[62:63]
	v_mul_f64 v[116:117], v[108:109], v[108:109]
	v_mul_f64 v[108:109], v[108:109], v[62:63]
	v_fmac_f64_e32 v[116:117], v[114:115], v[114:115]
	v_fmac_f64_e32 v[108:109], v[114:115], v[58:59]
	v_mul_f64 v[114:115], v[62:63], v[62:63]
	v_fmac_f64_e32 v[114:115], v[58:59], v[58:59]
	v_lshl_add_u64 v[58:59], s[18:19], 0, v[36:37]
	v_add_f64 v[106:107], v[60:61], -v[110:111]
	v_add_f64 v[110:111], v[60:61], v[110:111]
	global_load_dwordx2 v[60:61], v[58:59], off
	v_add_f64 v[58:59], v[118:119], v[120:121]
	v_add_f64 v[58:59], v[112:113], v[58:59]
	v_mul_f64 v[58:59], v[58:59], s[2:3]
	v_fmac_f64_e32 v[116:117], v[106:107], v[106:107]
	v_fmac_f64_e32 v[108:109], v[106:107], v[110:111]
	;; [unrolled: 1-line block ×3, first 2 shown]
	s_load_dwordx8 s[12:19], s[0:1], 0x40
	s_waitcnt vmcnt(0)
	v_div_scale_f64 v[62:63], s[2:3], v[60:61], v[60:61], v[58:59]
	v_rcp_f64_e32 v[106:107], v[62:63]
	v_div_scale_f64 v[110:111], vcc, v[58:59], v[60:61], v[58:59]
	v_fma_f64 v[112:113], -v[62:63], v[106:107], 1.0
	v_fmac_f64_e32 v[106:107], v[106:107], v[112:113]
	v_fma_f64 v[112:113], -v[62:63], v[106:107], 1.0
	v_fmac_f64_e32 v[106:107], v[106:107], v[112:113]
	v_mul_f64 v[112:113], v[110:111], v[106:107]
	v_fma_f64 v[62:63], -v[62:63], v[112:113], v[110:111]
	v_div_fmas_f64 v[62:63], v[62:63], v[106:107], v[112:113]
	v_mul_f64 v[106:107], v[108:109], v[108:109]
	v_add_f64 v[108:109], v[26:27], -v[52:53]
	v_add_f64 v[110:111], v[102:103], -v[108:109]
	v_add_f64 v[102:103], v[102:103], v[108:109]
	v_add_f64 v[108:109], v[16:17], -v[40:41]
	v_add_f64 v[112:113], v[104:105], -v[108:109]
	v_add_f64 v[104:105], v[104:105], v[108:109]
	v_add_f64 v[108:109], v[38:39], -v[54:55]
	v_fma_f64 v[106:107], v[116:117], v[114:115], -v[106:107]
	v_add_f64 v[114:115], v[94:95], -v[108:109]
	v_add_f64 v[94:95], v[94:95], v[108:109]
	v_mul_f64 v[108:109], v[112:113], v[112:113]
	v_mul_f64 v[112:113], v[112:113], v[104:105]
	v_fmac_f64_e32 v[112:113], v[110:111], v[102:103]
	v_mul_f64 v[104:105], v[104:105], v[104:105]
	v_fmac_f64_e32 v[108:109], v[110:111], v[110:111]
	v_fmac_f64_e32 v[104:105], v[102:103], v[102:103]
	;; [unrolled: 1-line block ×5, first 2 shown]
	v_mul_f64 v[94:95], v[112:113], v[112:113]
	v_fma_f64 v[94:95], v[108:109], v[104:105], -v[94:95]
	v_max_f64 v[102:103], v[106:107], 0
	v_cmp_gt_f64_e32 vcc, v[94:95], v[102:103]
	v_add_f64 v[110:111], v[86:87], -v[66:67]
	v_add_f64 v[112:113], v[86:87], v[66:67]
	v_cndmask_b32_e32 v95, v103, v95, vcc
	v_cndmask_b32_e32 v94, v102, v94, vcc
	v_add_f64 v[102:103], v[50:51], -v[44:45]
	v_add_f64 v[106:107], v[96:97], -v[102:103]
	v_add_f64 v[96:97], v[102:103], v[96:97]
	v_add_f64 v[102:103], v[42:43], -v[34:35]
	v_add_f64 v[104:105], v[100:101], -v[102:103]
	v_add_f64 v[108:109], v[102:103], v[100:101]
	;; [unrolled: 3-line block ×3, first 2 shown]
	v_mul_f64 v[98:99], v[104:105], v[104:105]
	v_mul_f64 v[104:105], v[104:105], v[108:109]
	v_fmac_f64_e32 v[98:99], v[106:107], v[106:107]
	v_fmac_f64_e32 v[104:105], v[106:107], v[96:97]
	v_mul_f64 v[106:107], v[108:109], v[108:109]
	v_fmac_f64_e32 v[106:107], v[96:97], v[96:97]
	v_fmac_f64_e32 v[104:105], v[100:101], v[102:103]
	;; [unrolled: 1-line block ×4, first 2 shown]
	v_mul_f64 v[96:97], v[104:105], v[104:105]
	v_fma_f64 v[96:97], v[98:99], v[106:107], -v[96:97]
	v_cmp_gt_f64_e32 vcc, v[96:97], v[94:95]
	v_ashrrev_i32_e32 v67, 31, v1
	v_mov_b32_e32 v66, v1
	v_cndmask_b32_e32 v95, v95, v97, vcc
	v_cndmask_b32_e32 v94, v94, v96, vcc
	v_add_f64 v[96:97], v[52:53], -v[14:15]
	v_add_f64 v[98:99], v[88:89], -v[96:97]
	v_add_f64 v[88:89], v[96:97], v[88:89]
	v_add_f64 v[96:97], v[40:41], -v[32:33]
	v_add_f64 v[100:101], v[92:93], -v[96:97]
	v_add_f64 v[92:93], v[96:97], v[92:93]
	v_add_f64 v[96:97], v[54:55], -v[22:23]
	v_add_f64 v[102:103], v[84:85], -v[96:97]
	v_add_f64 v[84:85], v[96:97], v[84:85]
	v_mul_f64 v[96:97], v[100:101], v[100:101]
	v_mul_f64 v[100:101], v[100:101], v[92:93]
	;; [unrolled: 1-line block ×3, first 2 shown]
	v_fmac_f64_e32 v[100:101], v[98:99], v[88:89]
	v_fmac_f64_e32 v[92:93], v[88:89], v[88:89]
	v_add_f64 v[88:89], v[82:83], -v[76:77]
	v_add_f64 v[76:77], v[76:77], v[82:83]
	v_add_f64 v[82:83], v[78:79], -v[80:81]
	v_add_f64 v[78:79], v[80:81], v[78:79]
	v_fmac_f64_e32 v[96:97], v[98:99], v[98:99]
	v_fmac_f64_e32 v[100:101], v[102:103], v[84:85]
	v_add_f64 v[80:81], v[90:91], -v[74:75]
	v_add_f64 v[74:75], v[74:75], v[90:91]
	v_mul_f64 v[90:91], v[82:83], v[82:83]
	v_mul_f64 v[82:83], v[82:83], v[78:79]
	v_fmac_f64_e32 v[96:97], v[102:103], v[102:103]
	v_fmac_f64_e32 v[92:93], v[84:85], v[84:85]
	v_mul_f64 v[84:85], v[100:101], v[100:101]
	v_fmac_f64_e32 v[82:83], v[88:89], v[76:77]
	v_mul_f64 v[78:79], v[78:79], v[78:79]
	v_fma_f64 v[84:85], v[96:97], v[92:93], -v[84:85]
	v_fmac_f64_e32 v[90:91], v[88:89], v[88:89]
	v_fmac_f64_e32 v[78:79], v[76:77], v[76:77]
	;; [unrolled: 1-line block ×3, first 2 shown]
	v_cmp_gt_f64_e32 vcc, v[84:85], v[94:95]
	v_fmac_f64_e32 v[90:91], v[80:81], v[80:81]
	v_fmac_f64_e32 v[78:79], v[74:75], v[74:75]
	v_mul_f64 v[74:75], v[82:83], v[82:83]
	v_cndmask_b32_e32 v85, v95, v85, vcc
	v_cndmask_b32_e32 v84, v94, v84, vcc
	v_fma_f64 v[74:75], v[90:91], v[78:79], -v[74:75]
	v_cmp_gt_f64_e32 vcc, v[74:75], v[84:85]
	v_ashrrev_i32_e32 v83, 31, v12
	v_mov_b32_e32 v82, v12
	v_cndmask_b32_e32 v107, v85, v75, vcc
	v_cndmask_b32_e32 v106, v84, v74, vcc
	v_add_f64 v[74:75], v[72:73], -v[68:69]
	v_add_f64 v[68:69], v[72:73], v[68:69]
	v_add_f64 v[72:73], v[64:65], -v[70:71]
	v_add_f64 v[64:65], v[64:65], v[70:71]
	v_mul_f64 v[114:115], v[72:73], v[64:65]
	v_mul_f64 v[116:117], v[64:65], v[64:65]
	s_waitcnt lgkmcnt(0)
	v_lshl_add_u64 v[64:65], s[12:13], 0, v[36:37]
	global_load_dwordx2 v[104:105], v[64:65], off
	v_ashrrev_i32_e32 v65, 31, v0
	v_mov_b32_e32 v64, v0
	v_mul_f64 v[108:109], v[72:73], v[72:73]
	v_lshlrev_b64 v[0:1], 3, v[64:65]
	v_fmac_f64_e32 v[108:109], v[74:75], v[74:75]
	v_fmac_f64_e32 v[114:115], v[74:75], v[68:69]
	v_ashrrev_i32_e32 v73, 31, v4
	v_mov_b32_e32 v72, v4
	v_ashrrev_i32_e32 v75, 31, v5
	v_mov_b32_e32 v74, v5
	v_lshl_add_u64 v[4:5], s[4:5], 0, v[0:1]
	global_load_dwordx2 v[84:85], v[4:5], off
	v_lshl_add_u64 v[4:5], s[6:7], 0, v[0:1]
	v_ashrrev_i32_e32 v89, 31, v13
	v_mov_b32_e32 v88, v13
	global_load_dwordx2 v[12:13], v[4:5], off
	v_lshlrev_b64 v[4:5], 3, v[66:67]
	v_fmac_f64_e32 v[116:117], v[68:69], v[68:69]
	v_ashrrev_i32_e32 v69, 31, v8
	v_mov_b32_e32 v68, v8
	v_ashrrev_i32_e32 v71, 31, v9
	v_mov_b32_e32 v70, v9
	v_lshl_add_u64 v[8:9], s[4:5], 0, v[4:5]
	global_load_dwordx2 v[92:93], v[8:9], off
	v_lshl_add_u64 v[8:9], s[6:7], 0, v[4:5]
	global_load_dwordx2 v[66:67], v[8:9], off
	v_lshlrev_b64 v[8:9], 3, v[68:69]
	v_lshl_add_u64 v[64:65], s[4:5], 0, v[8:9]
	global_load_dwordx2 v[90:91], v[64:65], off
	v_lshl_add_u64 v[64:65], s[6:7], 0, v[8:9]
	global_load_dwordx2 v[68:69], v[64:65], off
	v_lshlrev_b64 v[64:65], 3, v[70:71]
	v_lshlrev_b64 v[72:73], 3, v[72:73]
	;; [unrolled: 1-line block ×4, first 2 shown]
	v_lshl_add_u64 v[70:71], s[4:5], 0, v[64:65]
	v_lshl_add_u64 v[78:79], s[4:5], 0, v[72:73]
	;; [unrolled: 1-line block ×4, first 2 shown]
	v_lshlrev_b64 v[88:89], 3, v[88:89]
	global_load_dwordx2 v[76:77], v[70:71], off
	global_load_dwordx2 v[98:99], v[78:79], off
	;; [unrolled: 1-line block ×4, first 2 shown]
	v_lshl_add_u64 v[96:97], s[4:5], 0, v[88:89]
	global_load_dwordx2 v[102:103], v[96:97], off
	v_lshl_add_u64 v[70:71], s[6:7], 0, v[64:65]
	v_lshl_add_u64 v[78:79], s[6:7], 0, v[72:73]
	;; [unrolled: 1-line block ×4, first 2 shown]
	global_load_dwordx2 v[70:71], v[70:71], off
	v_lshl_add_u64 v[96:97], s[6:7], 0, v[88:89]
	global_load_dwordx2 v[78:79], v[78:79], off
	v_lshl_add_u64 v[0:1], s[8:9], 0, v[0:1]
	;; [unrolled: 2-line block ×4, first 2 shown]
	v_lshl_add_u64 v[74:75], s[8:9], 0, v[74:75]
	v_lshl_add_u64 v[82:83], s[8:9], 0, v[82:83]
	global_load_dwordx2 v[96:97], v[96:97], off
	v_lshl_add_u64 v[4:5], s[8:9], 0, v[4:5]
	global_load_dwordx2 v[0:1], v[0:1], off
	;; [unrolled: 2-line block ×4, first 2 shown]
	v_fmac_f64_e32 v[114:115], v[110:111], v[112:113]
	global_load_dwordx2 v[74:75], v[74:75], off
	v_fmac_f64_e32 v[108:109], v[110:111], v[110:111]
	global_load_dwordx2 v[82:83], v[82:83], off
	;; [unrolled: 2-line block ×3, first 2 shown]
	v_mul_f64 v[110:111], v[114:115], v[114:115]
	global_load_dwordx2 v[88:89], v[88:89], off
	v_fma_f64 v[108:109], v[108:109], v[116:117], -v[110:111]
	global_load_dwordx2 v[8:9], v[8:9], off
	s_load_dwordx8 s[4:11], s[0:1], 0x60
	v_cmp_gt_f64_e32 vcc, v[108:109], v[106:107]
	s_mov_b32 s0, 0
	s_brev_b32 s1, 8
	v_cndmask_b32_e32 v107, v107, v109, vcc
	v_cndmask_b32_e32 v106, v106, v108, vcc
	v_mov_b32_e32 v108, 0x100
	v_cmp_gt_f64_e32 vcc, s[0:1], v[106:107]
	v_div_fixup_f64 v[60:61], v[62:63], v[60:61], v[58:59]
	s_waitcnt lgkmcnt(0)
	v_lshl_add_u64 v[62:63], s[8:9], 0, v[36:37]
	v_cndmask_b32_e32 v108, 0, v108, vcc
	v_ldexp_f64 v[106:107], v[106:107], v108
	v_rsq_f64_e32 v[108:109], v[106:107]
	global_store_dwordx2 v[62:63], v[60:61], off
	v_mul_f64 v[58:59], v[58:59], 4.0
	s_waitcnt vmcnt(25)
	v_add_f64 v[60:61], v[60:61], -v[104:105]
	v_mul_f64 v[62:63], v[106:107], v[108:109]
	v_mul_f64 v[108:109], v[108:109], 0.5
	v_fma_f64 v[110:111], -v[108:109], v[62:63], 0.5
	v_fmac_f64_e32 v[62:63], v[62:63], v[110:111]
	v_fmac_f64_e32 v[108:109], v[108:109], v[110:111]
	v_fma_f64 v[110:111], -v[62:63], v[62:63], v[106:107]
	v_fmac_f64_e32 v[62:63], v[110:111], v[108:109]
	v_fma_f64 v[110:111], -v[62:63], v[62:63], v[106:107]
	v_fmac_f64_e32 v[62:63], v[110:111], v[108:109]
	v_mov_b32_e32 v108, 0xffffff80
	v_cndmask_b32_e32 v108, 0, v108, vcc
	v_ldexp_f64 v[62:63], v[62:63], v108
	v_mov_b32_e32 v108, 0x260
	v_cmp_class_f64_e32 vcc, v[106:107], v108
	v_lshl_add_u64 v[104:105], s[14:15], 0, v[36:37]
	global_store_dwordx2 v[104:105], v[60:61], off
	v_cndmask_b32_e32 v63, v63, v107, vcc
	v_cndmask_b32_e32 v62, v62, v106, vcc
	v_div_scale_f64 v[106:107], s[0:1], v[62:63], v[62:63], v[58:59]
	v_rcp_f64_e32 v[108:109], v[106:107]
	s_nop 0
	v_fma_f64 v[60:61], -v[106:107], v[108:109], 1.0
	v_fmac_f64_e32 v[108:109], v[108:109], v[60:61]
	v_fma_f64 v[60:61], -v[106:107], v[108:109], 1.0
	v_fmac_f64_e32 v[108:109], v[108:109], v[60:61]
	v_div_scale_f64 v[60:61], vcc, v[58:59], v[62:63], v[58:59]
	v_mul_f64 v[104:105], v[60:61], v[108:109]
	v_fma_f64 v[60:61], -v[106:107], v[104:105], v[60:61]
	s_nop 1
	v_div_fmas_f64 v[60:61], v[60:61], v[108:109], v[104:105]
	v_div_fixup_f64 v[58:59], v[60:61], v[62:63], v[58:59]
	v_lshl_add_u64 v[60:61], s[16:17], 0, v[36:37]
	global_store_dwordx2 v[60:61], v[58:59], off
	v_mul_f64 v[58:59], s[10:11], 0.5
	s_waitcnt vmcnt(26)
	v_fma_f64 v[20:21], -v[58:59], v[84:85], v[20:21]
	s_waitcnt vmcnt(20)
	v_fma_f64 v[10:11], -v[58:59], v[76:77], v[10:11]
	;; [unrolled: 2-line block ×4, first 2 shown]
	v_fma_f64 v[44:45], -v[58:59], v[92:93], v[44:45]
	s_waitcnt vmcnt(16)
	v_fma_f64 v[26:27], -v[58:59], v[102:103], v[26:27]
	v_add_f64 v[2:3], v[2:3], -v[20:21]
	v_add_f64 v[10:11], v[52:53], -v[10:11]
	v_fma_f64 v[14:15], -v[58:59], v[90:91], v[14:15]
	v_fma_f64 v[50:51], -v[58:59], v[98:99], v[50:51]
	v_add_f64 v[20:21], v[26:27], -v[44:45]
	v_add_f64 v[26:27], v[10:11], v[2:3]
	v_add_f64 v[2:3], v[2:3], -v[10:11]
	v_fma_f64 v[46:47], -v[58:59], v[12:13], v[46:47]
	s_waitcnt vmcnt(15)
	v_fma_f64 v[30:31], -v[58:59], v[70:71], v[30:31]
	s_waitcnt vmcnt(13)
	;; [unrolled: 2-line block ×3, first 2 shown]
	v_fma_f64 v[24:25], -v[58:59], v[94:95], v[24:25]
	v_add_f64 v[14:15], v[50:51], -v[14:15]
	v_add_f64 v[2:3], v[2:3], v[20:21]
	v_add_f64 v[10:11], v[26:27], -v[20:21]
	v_add_f64 v[20:21], v[26:27], v[20:21]
	v_fma_f64 v[34:35], -v[58:59], v[66:67], v[34:35]
	s_waitcnt vmcnt(11)
	v_fma_f64 v[16:17], -v[58:59], v[96:97], v[16:17]
	v_add_f64 v[10:11], v[10:11], -v[14:15]
	v_add_f64 v[2:3], v[2:3], -v[14:15]
	v_add_f64 v[14:15], v[14:15], v[20:21]
	v_add_f64 v[20:21], v[24:25], -v[46:47]
	v_add_f64 v[24:25], v[40:41], -v[30:31]
	s_waitcnt vmcnt(10)
	v_fma_f64 v[28:29], -v[58:59], v[0:1], v[28:29]
	v_fma_f64 v[32:33], -v[58:59], v[68:69], v[32:33]
	s_waitcnt vmcnt(9)
	v_fma_f64 v[18:19], -v[58:59], v[64:65], v[18:19]
	v_fma_f64 v[42:43], -v[58:59], v[78:79], v[42:43]
	s_waitcnt vmcnt(7)
	v_fma_f64 v[54:55], -v[58:59], v[74:75], v[54:55]
	s_waitcnt vmcnt(6)
	v_fma_f64 v[6:7], -v[58:59], v[82:83], v[6:7]
	v_add_f64 v[16:17], v[16:17], -v[34:35]
	v_add_f64 v[30:31], v[24:25], v[20:21]
	v_add_f64 v[20:21], v[20:21], -v[24:25]
	s_waitcnt vmcnt(5)
	v_fma_f64 v[56:57], -v[58:59], v[4:5], v[56:57]
	s_waitcnt vmcnt(4)
	v_fma_f64 v[38:39], -v[58:59], v[88:89], v[38:39]
	v_add_f64 v[26:27], v[42:43], -v[32:33]
	v_add_f64 v[20:21], v[20:21], v[16:17]
	v_add_f64 v[24:25], v[30:31], -v[16:17]
	v_add_f64 v[16:17], v[30:31], v[16:17]
	v_add_f64 v[6:7], v[6:7], -v[28:29]
	v_add_f64 v[18:19], v[54:55], -v[18:19]
	s_waitcnt vmcnt(3)
	v_fma_f64 v[22:23], -v[58:59], v[8:9], v[22:23]
	v_fma_f64 v[48:49], -v[58:59], v[72:73], v[48:49]
	v_add_f64 v[24:25], v[24:25], -v[26:27]
	v_add_f64 v[20:21], v[20:21], -v[26:27]
	v_add_f64 v[16:17], v[26:27], v[16:17]
	v_add_f64 v[26:27], v[38:39], -v[56:57]
	v_add_f64 v[28:29], v[18:19], v[6:7]
	v_add_f64 v[22:23], v[48:49], -v[22:23]
	v_add_f64 v[6:7], v[6:7], -v[18:19]
	;; [unrolled: 1-line block ×3, first 2 shown]
	v_add_f64 v[6:7], v[6:7], v[26:27]
	v_add_f64 v[26:27], v[28:29], v[26:27]
	v_add_f64 v[18:19], v[18:19], -v[22:23]
	v_add_f64 v[6:7], v[6:7], -v[22:23]
	v_add_f64 v[22:23], v[22:23], v[26:27]
	v_ldexp_f64 v[14:15], v[14:15], -3
	v_ldexp_f64 v[18:19], v[18:19], -3
	;; [unrolled: 1-line block ×8, first 2 shown]
	v_mul_f64 v[30:31], v[14:15], v[18:19]
	v_ldexp_f64 v[2:3], v[2:3], -3
	v_mul_f64 v[26:27], v[16:17], v[6:7]
	v_mul_f64 v[28:29], v[24:25], v[22:23]
	v_fma_f64 v[30:31], v[10:11], v[22:23], -v[30:31]
	v_mul_f64 v[32:33], v[14:15], v[20:21]
	v_fma_f64 v[26:27], v[20:21], v[22:23], -v[26:27]
	v_fma_f64 v[28:29], v[16:17], v[18:19], -v[28:29]
	v_mul_f64 v[22:23], v[2:3], v[22:23]
	v_fma_f64 v[32:33], v[2:3], v[16:17], -v[32:33]
	v_mul_f64 v[16:17], v[10:11], v[16:17]
	v_mul_f64 v[34:35], v[20:21], v[30:31]
	v_fma_f64 v[22:23], v[14:15], v[6:7], -v[22:23]
	v_fma_f64 v[14:15], v[14:15], v[24:25], -v[16:17]
	v_fmac_f64_e32 v[34:35], v[2:3], v[28:29]
	v_fmac_f64_e32 v[34:35], v[14:15], v[6:7]
	v_ldexp_f64 v[34:35], v[34:35], 3
	v_div_scale_f64 v[38:39], s[0:1], v[34:35], v[34:35], 1.0
	v_rcp_f64_e32 v[40:41], v[38:39]
	v_mul_f64 v[16:17], v[10:11], v[6:7]
	v_fma_f64 v[16:17], v[2:3], v[18:19], -v[16:17]
	v_mul_f64 v[2:3], v[2:3], v[24:25]
	v_fma_f64 v[2:3], v[10:11], v[20:21], -v[2:3]
	v_fma_f64 v[10:11], -v[38:39], v[40:41], 1.0
	v_fmac_f64_e32 v[40:41], v[40:41], v[10:11]
	v_mul_f64 v[18:19], v[20:21], v[18:19]
	v_fma_f64 v[10:11], -v[38:39], v[40:41], 1.0
	v_fma_f64 v[6:7], v[24:25], v[6:7], -v[18:19]
	v_fmac_f64_e32 v[40:41], v[40:41], v[10:11]
	v_div_scale_f64 v[10:11], vcc, 1.0, v[34:35], 1.0
	v_add_f64 v[24:25], v[26:27], -v[28:29]
	v_mul_f64 v[18:19], v[10:11], v[40:41]
	v_add_f64 v[20:21], v[92:93], -v[102:103]
	v_add_f64 v[24:25], v[24:25], -v[6:7]
	v_fma_f64 v[10:11], -v[38:39], v[18:19], v[10:11]
	v_mul_f64 v[20:21], v[20:21], v[24:25]
	v_add_f64 v[24:25], -v[26:27], -v[28:29]
	v_div_fmas_f64 v[10:11], v[10:11], v[40:41], v[18:19]
	v_add_f64 v[18:19], v[84:85], -v[100:101]
	v_add_f64 v[24:25], v[24:25], -v[6:7]
	v_fmac_f64_e32 v[20:21], v[18:19], v[24:25]
	v_add_f64 v[24:25], v[26:27], v[28:29]
	v_add_f64 v[18:19], v[90:91], -v[98:99]
	v_add_f64 v[24:25], v[24:25], -v[6:7]
	v_fmac_f64_e32 v[20:21], v[18:19], v[24:25]
	v_add_f64 v[18:19], v[28:29], -v[26:27]
	v_add_f64 v[6:7], v[18:19], -v[6:7]
	v_add_f64 v[18:19], -v[22:23], -v[30:31]
	v_add_f64 v[24:25], v[22:23], -v[30:31]
	v_add_f64 v[26:27], v[22:23], v[30:31]
	v_add_f64 v[22:23], v[30:31], -v[22:23]
	v_add_f64 v[18:19], v[18:19], -v[16:17]
	;; [unrolled: 1-line block ×5, first 2 shown]
	v_add_f64 v[22:23], -v[32:33], -v[14:15]
	v_add_f64 v[28:29], v[32:33], -v[14:15]
	v_add_f64 v[30:31], v[32:33], v[14:15]
	v_add_f64 v[14:15], v[14:15], -v[32:33]
	v_add_f64 v[22:23], v[22:23], -v[2:3]
	;; [unrolled: 1-line block ×6, first 2 shown]
	v_fmac_f64_e32 v[20:21], v[6:7], v[14:15]
	v_add_f64 v[14:15], v[66:67], -v[96:97]
	v_add_f64 v[4:5], v[4:5], -v[88:89]
	;; [unrolled: 1-line block ×3, first 2 shown]
	v_mul_f64 v[14:15], v[24:25], v[14:15]
	v_add_f64 v[0:1], v[0:1], -v[82:83]
	v_mul_f64 v[4:5], v[28:29], v[4:5]
	v_fmac_f64_e32 v[14:15], v[18:19], v[12:13]
	v_add_f64 v[12:13], v[68:69], -v[78:79]
	v_fmac_f64_e32 v[4:5], v[22:23], v[0:1]
	v_add_f64 v[0:1], v[8:9], -v[72:73]
	v_div_fixup_f64 v[10:11], v[10:11], v[34:35], 1.0
	v_fmac_f64_e32 v[14:15], v[26:27], v[12:13]
	v_add_f64 v[12:13], v[70:71], -v[80:81]
	v_fmac_f64_e32 v[4:5], v[30:31], v[0:1]
	v_add_f64 v[0:1], v[64:65], -v[74:75]
	v_mul_f64 v[6:7], v[10:11], v[20:21]
	v_fmac_f64_e32 v[14:15], v[16:17], v[12:13]
	v_fmac_f64_e32 v[4:5], v[2:3], v[0:1]
	v_lshl_add_u64 v[2:3], s[18:19], 0, v[36:37]
	v_mul_f64 v[12:13], v[10:11], v[14:15]
	global_store_dwordx2 v[2:3], v[6:7], off
	v_lshl_add_u64 v[2:3], s[4:5], 0, v[36:37]
	v_mul_f64 v[0:1], v[10:11], v[4:5]
	global_store_dwordx2 v[2:3], v[12:13], off
	v_lshl_add_u64 v[2:3], s[6:7], 0, v[36:37]
	global_store_dwordx2 v[2:3], v[0:1], off
.LBB10_2:
	s_endpgm
	.section	.rodata,"a",@progbits
	.p2align	6, 0x0
	.amdhsa_kernel _Z22calcKinematicsForElemsPKdS0_S0_S0_S0_S0_PKiS0_S0_PdS3_S3_S3_S3_S3_di
		.amdhsa_group_segment_fixed_size 0
		.amdhsa_private_segment_fixed_size 0
		.amdhsa_kernarg_size 392
		.amdhsa_user_sgpr_count 2
		.amdhsa_user_sgpr_dispatch_ptr 0
		.amdhsa_user_sgpr_queue_ptr 0
		.amdhsa_user_sgpr_kernarg_segment_ptr 1
		.amdhsa_user_sgpr_dispatch_id 0
		.amdhsa_user_sgpr_kernarg_preload_length 0
		.amdhsa_user_sgpr_kernarg_preload_offset 0
		.amdhsa_user_sgpr_private_segment_size 0
		.amdhsa_uses_dynamic_stack 0
		.amdhsa_enable_private_segment 0
		.amdhsa_system_sgpr_workgroup_id_x 1
		.amdhsa_system_sgpr_workgroup_id_y 0
		.amdhsa_system_sgpr_workgroup_id_z 0
		.amdhsa_system_sgpr_workgroup_info 0
		.amdhsa_system_vgpr_workitem_id 0
		.amdhsa_next_free_vgpr 122
		.amdhsa_next_free_sgpr 20
		.amdhsa_accum_offset 124
		.amdhsa_reserve_vcc 1
		.amdhsa_float_round_mode_32 0
		.amdhsa_float_round_mode_16_64 0
		.amdhsa_float_denorm_mode_32 3
		.amdhsa_float_denorm_mode_16_64 3
		.amdhsa_dx10_clamp 1
		.amdhsa_ieee_mode 1
		.amdhsa_fp16_overflow 0
		.amdhsa_tg_split 0
		.amdhsa_exception_fp_ieee_invalid_op 0
		.amdhsa_exception_fp_denorm_src 0
		.amdhsa_exception_fp_ieee_div_zero 0
		.amdhsa_exception_fp_ieee_overflow 0
		.amdhsa_exception_fp_ieee_underflow 0
		.amdhsa_exception_fp_ieee_inexact 0
		.amdhsa_exception_int_div_zero 0
	.end_amdhsa_kernel
	.text
.Lfunc_end10:
	.size	_Z22calcKinematicsForElemsPKdS0_S0_S0_S0_S0_PKiS0_S0_PdS3_S3_S3_S3_S3_di, .Lfunc_end10-_Z22calcKinematicsForElemsPKdS0_S0_S0_S0_S0_PKiS0_S0_PdS3_S3_S3_S3_S3_di
                                        ; -- End function
	.set _Z22calcKinematicsForElemsPKdS0_S0_S0_S0_S0_PKiS0_S0_PdS3_S3_S3_S3_S3_di.num_vgpr, 122
	.set _Z22calcKinematicsForElemsPKdS0_S0_S0_S0_S0_PKiS0_S0_PdS3_S3_S3_S3_S3_di.num_agpr, 0
	.set _Z22calcKinematicsForElemsPKdS0_S0_S0_S0_S0_PKiS0_S0_PdS3_S3_S3_S3_S3_di.numbered_sgpr, 20
	.set _Z22calcKinematicsForElemsPKdS0_S0_S0_S0_S0_PKiS0_S0_PdS3_S3_S3_S3_S3_di.num_named_barrier, 0
	.set _Z22calcKinematicsForElemsPKdS0_S0_S0_S0_S0_PKiS0_S0_PdS3_S3_S3_S3_S3_di.private_seg_size, 0
	.set _Z22calcKinematicsForElemsPKdS0_S0_S0_S0_S0_PKiS0_S0_PdS3_S3_S3_S3_S3_di.uses_vcc, 1
	.set _Z22calcKinematicsForElemsPKdS0_S0_S0_S0_S0_PKiS0_S0_PdS3_S3_S3_S3_S3_di.uses_flat_scratch, 0
	.set _Z22calcKinematicsForElemsPKdS0_S0_S0_S0_S0_PKiS0_S0_PdS3_S3_S3_S3_S3_di.has_dyn_sized_stack, 0
	.set _Z22calcKinematicsForElemsPKdS0_S0_S0_S0_S0_PKiS0_S0_PdS3_S3_S3_S3_S3_di.has_recursion, 0
	.set _Z22calcKinematicsForElemsPKdS0_S0_S0_S0_S0_PKiS0_S0_PdS3_S3_S3_S3_S3_di.has_indirect_call, 0
	.section	.AMDGPU.csdata,"",@progbits
; Kernel info:
; codeLenInByte = 4368
; TotalNumSgprs: 26
; NumVgprs: 122
; NumAgprs: 0
; TotalNumVgprs: 122
; ScratchSize: 0
; MemoryBound: 0
; FloatMode: 240
; IeeeMode: 1
; LDSByteSize: 0 bytes/workgroup (compile time only)
; SGPRBlocks: 3
; VGPRBlocks: 15
; NumSGPRsForWavesPerEU: 26
; NumVGPRsForWavesPerEU: 122
; AccumOffset: 124
; Occupancy: 4
; WaveLimiterHint : 1
; COMPUTE_PGM_RSRC2:SCRATCH_EN: 0
; COMPUTE_PGM_RSRC2:USER_SGPR: 2
; COMPUTE_PGM_RSRC2:TRAP_HANDLER: 0
; COMPUTE_PGM_RSRC2:TGID_X_EN: 1
; COMPUTE_PGM_RSRC2:TGID_Y_EN: 0
; COMPUTE_PGM_RSRC2:TGID_Z_EN: 0
; COMPUTE_PGM_RSRC2:TIDIG_COMP_CNT: 0
; COMPUTE_PGM_RSRC3_GFX90A:ACCUM_OFFSET: 30
; COMPUTE_PGM_RSRC3_GFX90A:TG_SPLIT: 0
	.text
	.protected	_Z15calcStrainRatesPdS_S_PKdS_Pii ; -- Begin function _Z15calcStrainRatesPdS_S_PKdS_Pii
	.globl	_Z15calcStrainRatesPdS_S_PKdS_Pii
	.p2align	8
	.type	_Z15calcStrainRatesPdS_S_PKdS_Pii,@function
_Z15calcStrainRatesPdS_S_PKdS_Pii:      ; @_Z15calcStrainRatesPdS_S_PKdS_Pii
; %bb.0:
	s_load_dword s3, s[0:1], 0x44
	s_load_dword s4, s[0:1], 0x30
	s_waitcnt lgkmcnt(0)
	s_and_b32 s3, s3, 0xffff
	s_mul_i32 s2, s2, s3
	v_add_u32_e32 v0, s2, v0
	v_cmp_gt_i32_e32 vcc, s4, v0
	s_and_saveexec_b64 s[2:3], vcc
	s_cbranch_execz .LBB11_3
; %bb.1:
	s_load_dwordx8 s[4:11], s[0:1], 0x0
	v_ashrrev_i32_e32 v1, 31, v0
	v_lshlrev_b64 v[2:3], 3, v[0:1]
	s_load_dwordx2 s[2:3], s[0:1], 0x20
	s_waitcnt lgkmcnt(0)
	v_lshl_add_u64 v[4:5], s[4:5], 0, v[2:3]
	v_lshl_add_u64 v[6:7], s[6:7], 0, v[2:3]
	global_load_dwordx2 v[8:9], v[4:5], off
	global_load_dwordx2 v[10:11], v[6:7], off
	v_lshl_add_u64 v[12:13], s[8:9], 0, v[2:3]
	global_load_dwordx2 v[14:15], v[12:13], off
	v_lshl_add_u64 v[16:17], s[10:11], 0, v[2:3]
	global_load_dwordx2 v[16:17], v[16:17], off
	s_mov_b32 s4, 0
	s_mov_b32 s5, 0x40080000
	v_lshl_add_u64 v[2:3], s[2:3], 0, v[2:3]
	s_waitcnt vmcnt(2)
	v_add_f64 v[18:19], v[8:9], v[10:11]
	s_waitcnt vmcnt(1)
	v_add_f64 v[18:19], v[18:19], v[14:15]
	v_div_scale_f64 v[20:21], s[2:3], s[4:5], s[4:5], v[18:19]
	v_rcp_f64_e32 v[22:23], v[20:21]
	global_store_dwordx2 v[2:3], v[18:19], off
	v_div_scale_f64 v[24:25], vcc, v[18:19], s[4:5], v[18:19]
	v_fma_f64 v[2:3], -v[20:21], v[22:23], 1.0
	v_fmac_f64_e32 v[22:23], v[22:23], v[2:3]
	v_fma_f64 v[2:3], -v[20:21], v[22:23], 1.0
	v_fmac_f64_e32 v[22:23], v[22:23], v[2:3]
	v_mul_f64 v[2:3], v[24:25], v[22:23]
	v_fma_f64 v[20:21], -v[20:21], v[2:3], v[24:25]
	v_div_fmas_f64 v[2:3], v[20:21], v[22:23], v[2:3]
	v_div_fixup_f64 v[2:3], v[2:3], s[4:5], v[18:19]
	v_add_f64 v[8:9], v[8:9], -v[2:3]
	s_waitcnt vmcnt(1)
	v_cmp_ge_f64_e32 vcc, 0, v[16:17]
	v_add_f64 v[10:11], v[10:11], -v[2:3]
	v_add_f64 v[2:3], v[14:15], -v[2:3]
	global_store_dwordx2 v[4:5], v[8:9], off
	global_store_dwordx2 v[6:7], v[10:11], off
	;; [unrolled: 1-line block ×3, first 2 shown]
	s_and_b64 exec, exec, vcc
	s_cbranch_execz .LBB11_3
; %bb.2:
	s_load_dwordx2 s[0:1], s[0:1], 0x28
	v_mov_b32_e32 v1, 0
	s_waitcnt lgkmcnt(0)
	global_store_dword v1, v0, s[0:1]
.LBB11_3:
	s_endpgm
	.section	.rodata,"a",@progbits
	.p2align	6, 0x0
	.amdhsa_kernel _Z15calcStrainRatesPdS_S_PKdS_Pii
		.amdhsa_group_segment_fixed_size 0
		.amdhsa_private_segment_fixed_size 0
		.amdhsa_kernarg_size 312
		.amdhsa_user_sgpr_count 2
		.amdhsa_user_sgpr_dispatch_ptr 0
		.amdhsa_user_sgpr_queue_ptr 0
		.amdhsa_user_sgpr_kernarg_segment_ptr 1
		.amdhsa_user_sgpr_dispatch_id 0
		.amdhsa_user_sgpr_kernarg_preload_length 0
		.amdhsa_user_sgpr_kernarg_preload_offset 0
		.amdhsa_user_sgpr_private_segment_size 0
		.amdhsa_uses_dynamic_stack 0
		.amdhsa_enable_private_segment 0
		.amdhsa_system_sgpr_workgroup_id_x 1
		.amdhsa_system_sgpr_workgroup_id_y 0
		.amdhsa_system_sgpr_workgroup_id_z 0
		.amdhsa_system_sgpr_workgroup_info 0
		.amdhsa_system_vgpr_workitem_id 0
		.amdhsa_next_free_vgpr 26
		.amdhsa_next_free_sgpr 12
		.amdhsa_accum_offset 28
		.amdhsa_reserve_vcc 1
		.amdhsa_float_round_mode_32 0
		.amdhsa_float_round_mode_16_64 0
		.amdhsa_float_denorm_mode_32 3
		.amdhsa_float_denorm_mode_16_64 3
		.amdhsa_dx10_clamp 1
		.amdhsa_ieee_mode 1
		.amdhsa_fp16_overflow 0
		.amdhsa_tg_split 0
		.amdhsa_exception_fp_ieee_invalid_op 0
		.amdhsa_exception_fp_denorm_src 0
		.amdhsa_exception_fp_ieee_div_zero 0
		.amdhsa_exception_fp_ieee_overflow 0
		.amdhsa_exception_fp_ieee_underflow 0
		.amdhsa_exception_fp_ieee_inexact 0
		.amdhsa_exception_int_div_zero 0
	.end_amdhsa_kernel
	.text
.Lfunc_end11:
	.size	_Z15calcStrainRatesPdS_S_PKdS_Pii, .Lfunc_end11-_Z15calcStrainRatesPdS_S_PKdS_Pii
                                        ; -- End function
	.set _Z15calcStrainRatesPdS_S_PKdS_Pii.num_vgpr, 26
	.set _Z15calcStrainRatesPdS_S_PKdS_Pii.num_agpr, 0
	.set _Z15calcStrainRatesPdS_S_PKdS_Pii.numbered_sgpr, 12
	.set _Z15calcStrainRatesPdS_S_PKdS_Pii.num_named_barrier, 0
	.set _Z15calcStrainRatesPdS_S_PKdS_Pii.private_seg_size, 0
	.set _Z15calcStrainRatesPdS_S_PKdS_Pii.uses_vcc, 1
	.set _Z15calcStrainRatesPdS_S_PKdS_Pii.uses_flat_scratch, 0
	.set _Z15calcStrainRatesPdS_S_PKdS_Pii.has_dyn_sized_stack, 0
	.set _Z15calcStrainRatesPdS_S_PKdS_Pii.has_recursion, 0
	.set _Z15calcStrainRatesPdS_S_PKdS_Pii.has_indirect_call, 0
	.section	.AMDGPU.csdata,"",@progbits
; Kernel info:
; codeLenInByte = 364
; TotalNumSgprs: 18
; NumVgprs: 26
; NumAgprs: 0
; TotalNumVgprs: 26
; ScratchSize: 0
; MemoryBound: 0
; FloatMode: 240
; IeeeMode: 1
; LDSByteSize: 0 bytes/workgroup (compile time only)
; SGPRBlocks: 2
; VGPRBlocks: 3
; NumSGPRsForWavesPerEU: 18
; NumVGPRsForWavesPerEU: 26
; AccumOffset: 28
; Occupancy: 8
; WaveLimiterHint : 0
; COMPUTE_PGM_RSRC2:SCRATCH_EN: 0
; COMPUTE_PGM_RSRC2:USER_SGPR: 2
; COMPUTE_PGM_RSRC2:TRAP_HANDLER: 0
; COMPUTE_PGM_RSRC2:TGID_X_EN: 1
; COMPUTE_PGM_RSRC2:TGID_Y_EN: 0
; COMPUTE_PGM_RSRC2:TGID_Z_EN: 0
; COMPUTE_PGM_RSRC2:TIDIG_COMP_CNT: 0
; COMPUTE_PGM_RSRC3_GFX90A:ACCUM_OFFSET: 6
; COMPUTE_PGM_RSRC3_GFX90A:TG_SPLIT: 0
	.text
	.protected	_Z31calcMonotonicQGradientsForElemsPKdS0_S0_S0_S0_S0_PKiS0_PdS3_S3_S3_S3_S3_S0_i ; -- Begin function _Z31calcMonotonicQGradientsForElemsPKdS0_S0_S0_S0_S0_PKiS0_PdS3_S3_S3_S3_S3_S0_i
	.globl	_Z31calcMonotonicQGradientsForElemsPKdS0_S0_S0_S0_S0_PKiS0_PdS3_S3_S3_S3_S3_S0_i
	.p2align	8
	.type	_Z31calcMonotonicQGradientsForElemsPKdS0_S0_S0_S0_S0_PKiS0_PdS3_S3_S3_S3_S3_S0_i,@function
_Z31calcMonotonicQGradientsForElemsPKdS0_S0_S0_S0_S0_PKiS0_PdS3_S3_S3_S3_S3_S0_i: ; @_Z31calcMonotonicQGradientsForElemsPKdS0_S0_S0_S0_S0_PKiS0_PdS3_S3_S3_S3_S3_S0_i
; %bb.0:
	s_load_dword s3, s[0:1], 0x8c
	s_load_dword s4, s[0:1], 0x78
	s_waitcnt lgkmcnt(0)
	s_and_b32 s3, s3, 0xffff
	s_mul_i32 s2, s2, s3
	v_add_u32_e32 v8, s2, v0
	v_cmp_gt_i32_e32 vcc, s4, v8
	s_and_saveexec_b64 s[2:3], vcc
	s_cbranch_execz .LBB12_2
; %bb.1:
	s_load_dwordx8 s[12:19], s[0:1], 0x20
	v_lshlrev_b32_e32 v0, 3, v8
	v_ashrrev_i32_e32 v1, 31, v0
	v_ashrrev_i32_e32 v9, 31, v8
	v_lshlrev_b64 v[8:9], 3, v[8:9]
	s_waitcnt lgkmcnt(0)
	v_lshl_add_u64 v[10:11], v[0:1], 2, s[16:17]
	global_load_dwordx4 v[4:7], v[10:11], off
	global_load_dwordx4 v[0:3], v[10:11], off offset:16
	s_load_dwordx2 s[2:3], s[0:1], 0x70
	s_load_dwordx4 s[24:27], s[0:1], 0x60
	v_lshl_add_u64 v[10:11], s[18:19], 0, v[8:9]
	s_waitcnt lgkmcnt(0)
	v_lshl_add_u64 v[16:17], s[2:3], 0, v[8:9]
	global_load_dwordx2 v[12:13], v[10:11], off
	global_load_dwordx2 v[14:15], v[16:17], off
	s_load_dwordx8 s[4:11], s[0:1], 0x40
	s_load_dwordx8 s[16:23], s[0:1], 0x0
	s_mov_b32 s0, 0x932d2e72
	s_mov_b32 s1, 0x38754484
	s_waitcnt vmcnt(3)
	v_ashrrev_i32_e32 v17, 31, v5
	v_mov_b32_e32 v16, v5
	v_ashrrev_i32_e32 v5, 31, v4
	s_waitcnt vmcnt(2)
	v_ashrrev_i32_e32 v21, 31, v1
	v_mov_b32_e32 v20, v1
	v_ashrrev_i32_e32 v1, 31, v0
	v_ashrrev_i32_e32 v19, 31, v7
	v_mov_b32_e32 v18, v7
	v_ashrrev_i32_e32 v7, 31, v6
	;; [unrolled: 3-line block ×3, first 2 shown]
	s_waitcnt vmcnt(0)
	v_mul_f64 v[10:11], v[12:13], v[14:15]
	v_fma_f64 v[40:41], v[12:13], v[14:15], s[0:1]
	v_lshlrev_b64 v[4:5], 3, v[4:5]
	v_lshlrev_b64 v[12:13], 3, v[16:17]
	;; [unrolled: 1-line block ×8, first 2 shown]
	s_waitcnt lgkmcnt(0)
	v_lshl_add_u64 v[20:21], s[22:23], 0, v[4:5]
	v_lshl_add_u64 v[28:29], s[22:23], 0, v[0:1]
	;; [unrolled: 1-line block ×24, first 2 shown]
	global_load_dwordx2 v[54:55], v[20:21], off
	global_load_dwordx2 v[108:109], v[22:23], off
	;; [unrolled: 1-line block ×8, first 2 shown]
	s_nop 0
	global_load_dwordx2 v[58:59], v[58:59], off
	s_nop 0
	global_load_dwordx2 v[102:103], v[64:65], off
	global_load_dwordx2 v[72:73], v[66:67], off
	;; [unrolled: 1-line block ×8, first 2 shown]
	s_nop 0
	global_load_dwordx2 v[74:75], v[78:79], off
	global_load_dwordx2 v[104:105], v[28:29], off
	global_load_dwordx2 v[100:101], v[34:35], off
	global_load_dwordx2 v[98:99], v[46:47], off
	global_load_dwordx2 v[96:97], v[52:53], off
	global_load_dwordx2 v[90:91], v[76:77], off
	s_nop 0
	global_load_dwordx2 v[76:77], v[110:111], off
	v_lshl_add_u64 v[20:21], s[16:17], 0, v[4:5]
	v_lshl_add_u64 v[28:29], s[16:17], 0, v[0:1]
	;; [unrolled: 1-line block ×18, first 2 shown]
	global_load_dwordx2 v[46:47], v[20:21], off
	global_load_dwordx2 v[52:53], v[22:23], off
	global_load_dwordx2 v[44:45], v[24:25], off
	global_load_dwordx2 v[2:3], v[26:27], off
	global_load_dwordx2 v[14:15], v[28:29], off
	s_nop 0
	global_load_dwordx2 v[28:29], v[30:31], off
	global_load_dwordx2 v[16:17], v[32:33], off
	;; [unrolled: 1-line block ×4, first 2 shown]
	v_div_scale_f64 v[64:65], s[2:3], v[40:41], v[40:41], 1.0
	v_lshl_add_u64 v[68:69], s[18:19], 0, v[0:1]
	v_lshl_add_u64 v[120:121], s[20:21], 0, v[0:1]
	v_rcp_f64_e32 v[0:1], v[64:65]
	v_lshl_add_u64 v[38:39], s[18:19], 0, v[12:13]
	v_lshl_add_u64 v[42:43], s[18:19], 0, v[6:7]
	;; [unrolled: 1-line block ×4, first 2 shown]
	v_div_scale_f64 v[66:67], vcc, 1.0, v[40:41], 1.0
	s_mov_b32 s2, 0
	s_brev_b32 s3, 8
	s_waitcnt vmcnt(0)
	scratch_store_dwordx2 off, v[4:5], off  ; 8-byte Folded Spill
	global_load_dwordx2 v[50:51], v[38:39], off
	s_nop 0
	global_load_dwordx2 v[4:5], v[42:43], off
	global_load_dwordx2 v[6:7], v[48:49], off
	;; [unrolled: 1-line block ×8, first 2 shown]
	s_nop 0
	global_load_dwordx2 v[12:13], v[116:117], off
	global_load_dwordx2 v[20:21], v[118:119], off
	;; [unrolled: 1-line block ×6, first 2 shown]
	v_fma_f64 v[68:69], -v[64:65], v[0:1], 1.0
	v_fmac_f64_e32 v[0:1], v[0:1], v[68:69]
	v_fma_f64 v[68:69], -v[64:65], v[0:1], 1.0
	v_fmac_f64_e32 v[0:1], v[0:1], v[68:69]
	v_mul_f64 v[68:69], v[66:67], v[0:1]
	v_fma_f64 v[64:65], -v[64:65], v[68:69], v[66:67]
	v_div_fmas_f64 v[0:1], v[64:65], v[0:1], v[68:69]
	v_div_fixup_f64 v[40:41], v[0:1], v[40:41], 1.0
	v_add_f64 v[110:111], v[54:55], v[108:109]
	v_add_f64 v[0:1], v[60:61], v[82:83]
	;; [unrolled: 1-line block ×12, first 2 shown]
	v_add_f64 v[0:1], v[68:69], -v[0:1]
	v_add_f64 v[68:69], v[114:115], -v[64:65]
	v_ldexp_f64 v[64:65], -v[0:1], -2
	v_add_f64 v[0:1], v[108:109], v[60:61]
	v_add_f64 v[54:55], v[54:55], v[82:83]
	;; [unrolled: 1-line block ×6, first 2 shown]
	v_add_f64 v[0:1], v[0:1], -v[54:55]
	v_ldexp_f64 v[54:55], v[0:1], -2
	v_add_f64 v[0:1], v[106:107], v[62:63]
	v_add_f64 v[56:57], v[56:57], v[80:81]
	;; [unrolled: 1-line block ×6, first 2 shown]
	v_add_f64 v[0:1], v[0:1], -v[56:57]
	v_add_f64 v[78:79], v[58:59], v[102:103]
	v_ldexp_f64 v[56:57], v[0:1], -2
	v_add_f64 v[0:1], v[102:103], v[72:73]
	v_add_f64 v[58:59], v[58:59], v[70:71]
	;; [unrolled: 1-line block ×6, first 2 shown]
	v_add_f64 v[0:1], v[0:1], -v[58:59]
	v_ldexp_f64 v[58:59], v[0:1], -2
	v_add_f64 v[0:1], v[104:105], v[92:93]
	v_add_f64 v[0:1], v[0:1], v[94:95]
	;; [unrolled: 1-line block ×5, first 2 shown]
	v_add_f64 v[0:1], v[0:1], -v[60:61]
	v_ldexp_f64 v[60:61], v[0:1], -2
	v_add_f64 v[0:1], v[98:99], v[86:87]
	v_add_f64 v[0:1], v[0:1], v[88:89]
	;; [unrolled: 1-line block ×3, first 2 shown]
	scratch_load_dwordx2 v[96:97], off, off ; 8-byte Folded Reload
	v_add_f64 v[66:67], v[72:73], v[70:71]
	v_add_f64 v[116:117], v[78:79], v[84:85]
	;; [unrolled: 1-line block ×7, first 2 shown]
	v_add_f64 v[114:115], v[116:117], -v[66:67]
	v_ldexp_f64 v[66:67], -v[68:69], -2
	v_add_f64 v[0:1], v[0:1], -v[62:63]
	v_ldexp_f64 v[68:69], -v[114:115], -2
	v_ldexp_f64 v[62:63], v[0:1], -2
	v_mul_f64 v[0:1], v[66:67], v[58:59]
	v_fma_f64 v[80:81], v[56:57], v[68:69], -v[0:1]
	v_mul_f64 v[0:1], v[54:55], v[68:69]
	v_fma_f64 v[82:83], v[64:65], v[58:59], -v[0:1]
	v_mul_f64 v[0:1], v[64:65], v[56:57]
	v_add_f64 v[86:87], v[90:91], v[84:85]
	v_fma_f64 v[84:85], v[54:55], v[66:67], -v[0:1]
	v_mul_f64 v[0:1], v[82:83], v[82:83]
	v_fmac_f64_e32 v[0:1], v[80:81], v[80:81]
	v_fmac_f64_e32 v[0:1], v[84:85], v[84:85]
	v_add_f64 v[88:89], v[0:1], s[0:1]
	v_mov_b32_e32 v90, 0x100
	v_cmp_gt_f64_e32 vcc, s[2:3], v[88:89]
	v_add_f64 v[74:75], v[86:87], v[74:75]
	v_add_f64 v[74:75], v[74:75], v[76:77]
	v_cndmask_b32_e32 v0, 0, v90, vcc
	v_ldexp_f64 v[0:1], v[88:89], v0
	v_rsq_f64_e32 v[88:89], v[0:1]
	v_add_f64 v[72:73], v[78:79], v[72:73]
	v_mov_b32_e32 v91, 0xffffff80
	v_mov_b32_e32 v92, 0x260
	v_mul_f64 v[76:77], v[0:1], v[88:89]
	v_mul_f64 v[78:79], v[88:89], 0.5
	v_fma_f64 v[86:87], -v[78:79], v[76:77], 0.5
	v_fmac_f64_e32 v[76:77], v[76:77], v[86:87]
	v_fma_f64 v[88:89], -v[76:77], v[76:77], v[0:1]
	v_fmac_f64_e32 v[78:79], v[78:79], v[86:87]
	v_fmac_f64_e32 v[76:77], v[88:89], v[78:79]
	v_fma_f64 v[86:87], -v[76:77], v[76:77], v[0:1]
	v_fmac_f64_e32 v[76:77], v[86:87], v[78:79]
	v_cndmask_b32_e32 v78, 0, v91, vcc
	v_ldexp_f64 v[76:77], v[76:77], v78
	v_cmp_class_f64_e32 vcc, v[0:1], v92
	v_add_f64 v[70:71], v[72:73], v[70:71]
	v_add_f64 v[70:71], v[74:75], -v[70:71]
	v_cndmask_b32_e32 v1, v77, v1, vcc
	v_cndmask_b32_e32 v0, v76, v0, vcc
	v_div_scale_f64 v[76:77], s[12:13], v[0:1], v[0:1], v[10:11]
	v_rcp_f64_e32 v[78:79], v[76:77]
	v_ldexp_f64 v[72:73], v[70:71], -2
	v_mul_f64 v[94:95], v[64:65], v[72:73]
	v_mul_f64 v[82:83], v[82:83], v[40:41]
	v_fma_f64 v[70:71], -v[76:77], v[78:79], 1.0
	v_fmac_f64_e32 v[78:79], v[78:79], v[70:71]
	v_fma_f64 v[70:71], -v[76:77], v[78:79], 1.0
	v_fmac_f64_e32 v[78:79], v[78:79], v[70:71]
	v_div_scale_f64 v[70:71], vcc, v[10:11], v[0:1], v[10:11]
	v_mul_f64 v[74:75], v[70:71], v[78:79]
	v_fma_f64 v[70:71], -v[76:77], v[74:75], v[70:71]
	v_mul_f64 v[80:81], v[80:81], v[40:41]
	s_nop 0
	v_div_fmas_f64 v[70:71], v[70:71], v[78:79], v[74:75]
	v_div_fixup_f64 v[0:1], v[70:71], v[0:1], v[10:11]
	v_lshl_add_u64 v[70:71], s[10:11], 0, v[8:9]
	global_store_dwordx2 v[70:71], v[0:1], off
	v_add_f64 v[0:1], v[14:15], v[28:29]
	v_add_f64 v[70:71], v[46:47], v[52:53]
	;; [unrolled: 1-line block ×6, first 2 shown]
	v_add_f64 v[0:1], v[0:1], -v[74:75]
	v_mul_f64 v[78:79], v[84:85], v[40:41]
	v_ldexp_f64 v[84:85], v[0:1], -2
	s_waitcnt vmcnt(12)
	v_add_f64 v[0:1], v[22:23], v[36:37]
	s_waitcnt vmcnt(11)
	v_add_f64 v[0:1], v[0:1], v[24:25]
	;; [unrolled: 2-line block ×3, first 2 shown]
	v_add_f64 v[76:77], v[74:75], v[4:5]
	v_add_f64 v[0:1], v[0:1], v[26:27]
	;; [unrolled: 1-line block ×3, first 2 shown]
	v_add_f64 v[0:1], v[0:1], -v[76:77]
	v_ldexp_f64 v[86:87], v[0:1], -2
	v_add_f64 v[0:1], v[30:31], v[38:39]
	v_add_f64 v[76:77], v[42:43], v[48:49]
	v_add_f64 v[0:1], v[0:1], v[32:33]
	v_add_f64 v[88:89], v[76:77], v[12:13]
	v_add_f64 v[0:1], v[0:1], v[34:35]
	v_add_f64 v[88:89], v[88:89], v[20:21]
	v_add_f64 v[88:89], v[0:1], -v[88:89]
	v_mul_f64 v[0:1], v[62:63], v[68:69]
	v_fma_f64 v[0:1], v[66:67], v[72:73], -v[0:1]
	v_fma_f64 v[68:69], v[60:61], v[68:69], -v[94:95]
	v_mul_f64 v[66:67], v[60:61], v[66:67]
	v_fma_f64 v[64:65], v[64:65], v[62:63], -v[66:67]
	v_mul_f64 v[66:67], v[68:69], v[68:69]
	v_fmac_f64_e32 v[66:67], v[0:1], v[0:1]
	v_fmac_f64_e32 v[66:67], v[64:65], v[64:65]
	v_add_f64 v[66:67], v[66:67], s[0:1]
	v_cmp_gt_f64_e32 vcc, s[2:3], v[66:67]
	v_mul_f64 v[82:83], v[86:87], v[82:83]
	v_fmac_f64_e32 v[82:83], v[84:85], v[80:81]
	v_cndmask_b32_e32 v93, 0, v90, vcc
	v_ldexp_f64 v[66:67], v[66:67], v93
	v_rsq_f64_e32 v[94:95], v[66:67]
	v_add_f64 v[52:53], v[52:53], v[44:45]
	v_add_f64 v[46:47], v[46:47], v[2:3]
	;; [unrolled: 1-line block ×3, first 2 shown]
	v_mul_f64 v[80:81], v[66:67], v[94:95]
	v_mul_f64 v[84:85], v[94:95], 0.5
	v_fma_f64 v[86:87], -v[84:85], v[80:81], 0.5
	v_fmac_f64_e32 v[80:81], v[80:81], v[86:87]
	v_fma_f64 v[94:95], -v[80:81], v[80:81], v[66:67]
	v_fmac_f64_e32 v[84:85], v[84:85], v[86:87]
	v_fmac_f64_e32 v[80:81], v[94:95], v[84:85]
	v_fma_f64 v[86:87], -v[80:81], v[80:81], v[66:67]
	v_fmac_f64_e32 v[80:81], v[86:87], v[84:85]
	v_cndmask_b32_e32 v84, 0, v91, vcc
	v_ldexp_f64 v[80:81], v[80:81], v84
	v_cmp_class_f64_e32 vcc, v[66:67], v92
	v_add_f64 v[46:47], v[46:47], v[18:19]
	v_add_f64 v[52:53], v[28:29], v[52:53]
	v_cndmask_b32_e32 v67, v81, v67, vcc
	v_cndmask_b32_e32 v66, v80, v66, vcc
	v_div_scale_f64 v[80:81], s[10:11], v[66:67], v[66:67], v[10:11]
	v_rcp_f64_e32 v[84:85], v[80:81]
	v_add_f64 v[46:47], v[14:15], v[46:47]
	v_add_f64 v[46:47], v[52:53], -v[46:47]
	v_add_f64 v[50:51], v[50:51], v[4:5]
	v_add_f64 v[52:53], v[96:97], v[6:7]
	v_ldexp_f64 v[88:89], v[88:89], -2
	v_add_f64 v[50:51], v[50:51], v[24:25]
	v_add_f64 v[52:53], v[52:53], v[26:27]
	;; [unrolled: 1-line block ×4, first 2 shown]
	v_fmac_f64_e32 v[82:83], v[88:89], v[78:79]
	v_lshl_add_u64 v[78:79], s[8:9], 0, v[8:9]
	v_add_f64 v[50:51], v[36:37], v[50:51]
	v_add_f64 v[52:53], v[22:23], v[52:53]
	;; [unrolled: 1-line block ×4, first 2 shown]
	global_store_dwordx2 v[78:79], v[82:83], off
	v_fma_f64 v[78:79], -v[80:81], v[84:85], 1.0
	v_add_f64 v[50:51], v[50:51], -v[52:53]
	v_add_f64 v[48:49], v[38:39], v[48:49]
	v_add_f64 v[42:43], v[30:31], v[42:43]
	v_mul_f64 v[52:53], v[60:61], v[58:59]
	v_fmac_f64_e32 v[84:85], v[84:85], v[78:79]
	v_add_f64 v[42:43], v[48:49], -v[42:43]
	v_mul_f64 v[48:49], v[56:57], v[72:73]
	v_fma_f64 v[52:53], v[54:55], v[72:73], -v[52:53]
	v_mul_f64 v[54:55], v[54:55], v[62:63]
	v_fma_f64 v[78:79], -v[80:81], v[84:85], 1.0
	v_fma_f64 v[48:49], v[62:63], v[58:59], -v[48:49]
	v_fma_f64 v[54:55], v[60:61], v[56:57], -v[54:55]
	v_mul_f64 v[56:57], v[52:53], v[52:53]
	v_fmac_f64_e32 v[84:85], v[84:85], v[78:79]
	v_div_scale_f64 v[78:79], vcc, v[10:11], v[66:67], v[10:11]
	v_fmac_f64_e32 v[56:57], v[48:49], v[48:49]
	v_mul_f64 v[82:83], v[78:79], v[84:85]
	v_fmac_f64_e32 v[56:57], v[54:55], v[54:55]
	v_fma_f64 v[78:79], -v[80:81], v[82:83], v[78:79]
	v_add_f64 v[56:57], v[56:57], s[0:1]
	v_div_fmas_f64 v[78:79], v[78:79], v[84:85], v[82:83]
	v_cmp_gt_f64_e32 vcc, s[2:3], v[56:57]
	v_div_fixup_f64 v[66:67], v[78:79], v[66:67], v[10:11]
	v_lshl_add_u64 v[78:79], s[26:27], 0, v[8:9]
	v_cndmask_b32_e32 v58, 0, v90, vcc
	v_ldexp_f64 v[56:57], v[56:57], v58
	v_rsq_f64_e32 v[58:59], v[56:57]
	global_store_dwordx2 v[78:79], v[66:67], off
	v_mul_f64 v[66:67], v[68:69], v[40:41]
	v_ldexp_f64 v[50:51], v[50:51], -2
	v_mul_f64 v[0:1], v[0:1], v[40:41]
	v_ldexp_f64 v[46:47], v[46:47], -2
	v_mul_f64 v[50:51], v[50:51], v[66:67]
	v_fmac_f64_e32 v[50:51], v[46:47], v[0:1]
	v_mul_f64 v[0:1], v[56:57], v[58:59]
	v_mul_f64 v[46:47], v[58:59], 0.5
	v_fma_f64 v[58:59], -v[46:47], v[0:1], 0.5
	v_fmac_f64_e32 v[0:1], v[0:1], v[58:59]
	v_fma_f64 v[60:61], -v[0:1], v[0:1], v[56:57]
	v_fmac_f64_e32 v[46:47], v[46:47], v[58:59]
	v_fmac_f64_e32 v[0:1], v[60:61], v[46:47]
	v_fma_f64 v[58:59], -v[0:1], v[0:1], v[56:57]
	v_fmac_f64_e32 v[0:1], v[58:59], v[46:47]
	v_cndmask_b32_e32 v46, 0, v91, vcc
	v_ldexp_f64 v[0:1], v[0:1], v46
	v_cmp_class_f64_e32 vcc, v[56:57], v92
	v_mul_f64 v[64:65], v[64:65], v[40:41]
	v_ldexp_f64 v[42:43], v[42:43], -2
	v_cndmask_b32_e32 v1, v1, v57, vcc
	v_cndmask_b32_e32 v0, v0, v56, vcc
	v_div_scale_f64 v[46:47], s[0:1], v[0:1], v[0:1], v[10:11]
	v_rcp_f64_e32 v[56:57], v[46:47]
	v_fmac_f64_e32 v[50:51], v[42:43], v[64:65]
	v_lshl_add_u64 v[42:43], s[24:25], 0, v[8:9]
	global_store_dwordx2 v[42:43], v[50:51], off
	v_fma_f64 v[42:43], -v[46:47], v[56:57], 1.0
	v_fmac_f64_e32 v[56:57], v[56:57], v[42:43]
	v_fma_f64 v[42:43], -v[46:47], v[56:57], 1.0
	v_add_f64 v[2:3], v[44:45], v[2:3]
	v_fmac_f64_e32 v[56:57], v[56:57], v[42:43]
	v_div_scale_f64 v[42:43], vcc, v[10:11], v[0:1], v[10:11]
	v_add_f64 v[28:29], v[70:71], v[28:29]
	v_add_f64 v[2:3], v[2:3], v[16:17]
	v_mul_f64 v[50:51], v[42:43], v[56:57]
	v_add_f64 v[14:15], v[14:15], v[28:29]
	v_add_f64 v[2:3], v[2:3], v[18:19]
	;; [unrolled: 1-line block ×3, first 2 shown]
	v_fma_f64 v[42:43], -v[46:47], v[50:51], v[42:43]
	v_add_f64 v[2:3], v[14:15], -v[2:3]
	v_add_f64 v[14:15], v[74:75], v[36:37]
	v_add_f64 v[4:5], v[4:5], v[24:25]
	v_div_fmas_f64 v[42:43], v[42:43], v[56:57], v[50:51]
	v_add_f64 v[14:15], v[22:23], v[14:15]
	v_add_f64 v[4:5], v[4:5], v[26:27]
	v_add_f64 v[12:13], v[12:13], v[20:21]
	v_div_fixup_f64 v[0:1], v[42:43], v[0:1], v[10:11]
	v_lshl_add_u64 v[10:11], s[6:7], 0, v[8:9]
	v_add_f64 v[4:5], v[14:15], -v[4:5]
	v_add_f64 v[6:7], v[76:77], v[38:39]
	v_add_f64 v[12:13], v[12:13], v[32:33]
	global_store_dwordx2 v[10:11], v[0:1], off
	v_mul_f64 v[10:11], v[52:53], v[40:41]
	v_ldexp_f64 v[4:5], -v[4:5], -2
	v_add_f64 v[6:7], v[30:31], v[6:7]
	v_add_f64 v[12:13], v[12:13], v[34:35]
	v_mul_f64 v[0:1], v[48:49], v[40:41]
	v_ldexp_f64 v[2:3], -v[2:3], -2
	v_add_f64 v[6:7], v[6:7], -v[12:13]
	v_mul_f64 v[4:5], v[4:5], v[10:11]
	v_mul_f64 v[40:41], v[54:55], v[40:41]
	v_ldexp_f64 v[6:7], -v[6:7], -2
	v_fmac_f64_e32 v[4:5], v[2:3], v[0:1]
	v_fmac_f64_e32 v[4:5], v[6:7], v[40:41]
	v_lshl_add_u64 v[0:1], s[4:5], 0, v[8:9]
	global_store_dwordx2 v[0:1], v[4:5], off
.LBB12_2:
	s_endpgm
	.section	.rodata,"a",@progbits
	.p2align	6, 0x0
	.amdhsa_kernel _Z31calcMonotonicQGradientsForElemsPKdS0_S0_S0_S0_S0_PKiS0_PdS3_S3_S3_S3_S3_S0_i
		.amdhsa_group_segment_fixed_size 0
		.amdhsa_private_segment_fixed_size 12
		.amdhsa_kernarg_size 384
		.amdhsa_user_sgpr_count 2
		.amdhsa_user_sgpr_dispatch_ptr 0
		.amdhsa_user_sgpr_queue_ptr 0
		.amdhsa_user_sgpr_kernarg_segment_ptr 1
		.amdhsa_user_sgpr_dispatch_id 0
		.amdhsa_user_sgpr_kernarg_preload_length 0
		.amdhsa_user_sgpr_kernarg_preload_offset 0
		.amdhsa_user_sgpr_private_segment_size 0
		.amdhsa_uses_dynamic_stack 0
		.amdhsa_enable_private_segment 1
		.amdhsa_system_sgpr_workgroup_id_x 1
		.amdhsa_system_sgpr_workgroup_id_y 0
		.amdhsa_system_sgpr_workgroup_id_z 0
		.amdhsa_system_sgpr_workgroup_info 0
		.amdhsa_system_vgpr_workitem_id 0
		.amdhsa_next_free_vgpr 128
		.amdhsa_next_free_sgpr 28
		.amdhsa_accum_offset 128
		.amdhsa_reserve_vcc 1
		.amdhsa_float_round_mode_32 0
		.amdhsa_float_round_mode_16_64 0
		.amdhsa_float_denorm_mode_32 3
		.amdhsa_float_denorm_mode_16_64 3
		.amdhsa_dx10_clamp 1
		.amdhsa_ieee_mode 1
		.amdhsa_fp16_overflow 0
		.amdhsa_tg_split 0
		.amdhsa_exception_fp_ieee_invalid_op 0
		.amdhsa_exception_fp_denorm_src 0
		.amdhsa_exception_fp_ieee_div_zero 0
		.amdhsa_exception_fp_ieee_overflow 0
		.amdhsa_exception_fp_ieee_underflow 0
		.amdhsa_exception_fp_ieee_inexact 0
		.amdhsa_exception_int_div_zero 0
	.end_amdhsa_kernel
	.text
.Lfunc_end12:
	.size	_Z31calcMonotonicQGradientsForElemsPKdS0_S0_S0_S0_S0_PKiS0_PdS3_S3_S3_S3_S3_S0_i, .Lfunc_end12-_Z31calcMonotonicQGradientsForElemsPKdS0_S0_S0_S0_S0_PKiS0_PdS3_S3_S3_S3_S3_S0_i
                                        ; -- End function
	.set _Z31calcMonotonicQGradientsForElemsPKdS0_S0_S0_S0_S0_PKiS0_PdS3_S3_S3_S3_S3_S0_i.num_vgpr, 128
	.set _Z31calcMonotonicQGradientsForElemsPKdS0_S0_S0_S0_S0_PKiS0_PdS3_S3_S3_S3_S3_S0_i.num_agpr, 0
	.set _Z31calcMonotonicQGradientsForElemsPKdS0_S0_S0_S0_S0_PKiS0_PdS3_S3_S3_S3_S3_S0_i.numbered_sgpr, 28
	.set _Z31calcMonotonicQGradientsForElemsPKdS0_S0_S0_S0_S0_PKiS0_PdS3_S3_S3_S3_S3_S0_i.num_named_barrier, 0
	.set _Z31calcMonotonicQGradientsForElemsPKdS0_S0_S0_S0_S0_PKiS0_PdS3_S3_S3_S3_S3_S0_i.private_seg_size, 12
	.set _Z31calcMonotonicQGradientsForElemsPKdS0_S0_S0_S0_S0_PKiS0_PdS3_S3_S3_S3_S3_S0_i.uses_vcc, 1
	.set _Z31calcMonotonicQGradientsForElemsPKdS0_S0_S0_S0_S0_PKiS0_PdS3_S3_S3_S3_S3_S0_i.uses_flat_scratch, 0
	.set _Z31calcMonotonicQGradientsForElemsPKdS0_S0_S0_S0_S0_PKiS0_PdS3_S3_S3_S3_S3_S0_i.has_dyn_sized_stack, 0
	.set _Z31calcMonotonicQGradientsForElemsPKdS0_S0_S0_S0_S0_PKiS0_PdS3_S3_S3_S3_S3_S0_i.has_recursion, 0
	.set _Z31calcMonotonicQGradientsForElemsPKdS0_S0_S0_S0_S0_PKiS0_PdS3_S3_S3_S3_S3_S0_i.has_indirect_call, 0
	.section	.AMDGPU.csdata,"",@progbits
; Kernel info:
; codeLenInByte = 3340
; TotalNumSgprs: 34
; NumVgprs: 128
; NumAgprs: 0
; TotalNumVgprs: 128
; ScratchSize: 12
; MemoryBound: 0
; FloatMode: 240
; IeeeMode: 1
; LDSByteSize: 0 bytes/workgroup (compile time only)
; SGPRBlocks: 4
; VGPRBlocks: 15
; NumSGPRsForWavesPerEU: 34
; NumVGPRsForWavesPerEU: 128
; AccumOffset: 128
; Occupancy: 4
; WaveLimiterHint : 0
; COMPUTE_PGM_RSRC2:SCRATCH_EN: 1
; COMPUTE_PGM_RSRC2:USER_SGPR: 2
; COMPUTE_PGM_RSRC2:TRAP_HANDLER: 0
; COMPUTE_PGM_RSRC2:TGID_X_EN: 1
; COMPUTE_PGM_RSRC2:TGID_Y_EN: 0
; COMPUTE_PGM_RSRC2:TGID_Z_EN: 0
; COMPUTE_PGM_RSRC2:TIDIG_COMP_CNT: 0
; COMPUTE_PGM_RSRC3_GFX90A:ACCUM_OFFSET: 31
; COMPUTE_PGM_RSRC3_GFX90A:TG_SPLIT: 0
	.text
	.protected	_Z22calcMonotonicQForElemsPKiPKdPdS3_S2_S2_S2_S2_S2_S2_S2_S2_S0_S0_S0_S0_S0_S0_S2_ddddi ; -- Begin function _Z22calcMonotonicQForElemsPKiPKdPdS3_S2_S2_S2_S2_S2_S2_S2_S2_S0_S0_S0_S0_S0_S0_S2_ddddi
	.globl	_Z22calcMonotonicQForElemsPKiPKdPdS3_S2_S2_S2_S2_S2_S2_S2_S2_S0_S0_S0_S0_S0_S0_S2_ddddi
	.p2align	8
	.type	_Z22calcMonotonicQForElemsPKiPKdPdS3_S2_S2_S2_S2_S2_S2_S2_S2_S0_S0_S0_S0_S0_S0_S2_ddddi,@function
_Z22calcMonotonicQForElemsPKiPKdPdS3_S2_S2_S2_S2_S2_S2_S2_S2_S0_S0_S0_S0_S0_S0_S2_ddddi: ; @_Z22calcMonotonicQForElemsPKiPKdPdS3_S2_S2_S2_S2_S2_S2_S2_S2_S0_S0_S0_S0_S0_S0_S2_ddddi
; %bb.0:
	s_load_dword s3, s[0:1], 0xcc
	s_load_dword s4, s[0:1], 0xb8
	s_waitcnt lgkmcnt(0)
	s_and_b32 s3, s3, 0xffff
	s_mul_i32 s2, s2, s3
	v_add_u32_e32 v8, s2, v0
	v_cmp_gt_i32_e32 vcc, s4, v8
	s_and_saveexec_b64 s[2:3], vcc
	s_cbranch_execz .LBB13_64
; %bb.1:
	s_load_dwordx2 s[2:3], s[0:1], 0x90
	s_load_dwordx4 s[28:31], s[0:1], 0x80
	s_load_dwordx8 s[36:43], s[0:1], 0x60
	s_load_dwordx8 s[20:27], s[0:1], 0x40
	;; [unrolled: 1-line block ×4, first 2 shown]
	v_ashrrev_i32_e32 v9, 31, v8
	s_mov_b64 s[34:35], -1
                                        ; implicit-def: $vgpr2_vgpr3
	s_waitcnt lgkmcnt(0)
	v_lshl_add_u64 v[0:1], v[8:9], 2, s[4:5]
	global_load_dword v16, v[0:1], off
	v_lshl_add_u64 v[0:1], v[8:9], 3, s[24:25]
	global_load_dwordx2 v[0:1], v[0:1], off
	s_waitcnt vmcnt(1)
	v_and_b32_e32 v4, 7, v16
	v_cmp_lt_i32_e32 vcc, 0, v4
	s_and_saveexec_b64 s[4:5], vcc
	s_cbranch_execz .LBB13_9
; %bb.2:
	v_cmp_lt_i32_e32 vcc, 3, v4
	s_mov_b64 s[44:45], 0
	s_mov_b64 s[34:35], 0
	s_and_saveexec_b64 s[46:47], vcc
	s_xor_b64 s[46:47], exec, s[46:47]
; %bb.3:
	v_cmp_ne_u32_e32 vcc, 4, v4
	s_mov_b64 s[34:35], exec
	s_and_b64 s[44:45], vcc, exec
                                        ; implicit-def: $vgpr4
; %bb.4:
	s_andn2_saveexec_b64 s[46:47], s[46:47]
; %bb.5:
	v_cmp_ne_u32_e32 vcc, 1, v4
	s_andn2_b64 s[44:45], s[44:45], exec
	s_and_b64 s[48:49], vcc, exec
	s_or_b64 s[44:45], s[44:45], s[48:49]
; %bb.6:
	s_or_b64 exec, exec, s[46:47]
	s_waitcnt vmcnt(0)
	v_mov_b64_e32 v[2:3], v[0:1]
	s_and_saveexec_b64 s[46:47], s[44:45]
	s_xor_b64 s[44:45], exec, s[46:47]
; %bb.7:
	v_mov_b64_e32 v[2:3], 0
	s_andn2_b64 s[34:35], s[34:35], exec
; %bb.8:
	s_or_b64 exec, exec, s[44:45]
	s_orn2_b64 s[34:35], s[34:35], exec
.LBB13_9:
	s_or_b64 exec, exec, s[4:5]
	s_and_saveexec_b64 s[4:5], s[34:35]
	s_cbranch_execz .LBB13_11
; %bb.10:
	v_lshl_add_u64 v[2:3], v[8:9], 2, s[36:37]
	global_load_dword v2, v[2:3], off
	s_waitcnt vmcnt(0)
	v_ashrrev_i32_e32 v3, 31, v2
	v_lshl_add_u64 v[2:3], v[2:3], 3, s[24:25]
	global_load_dwordx2 v[2:3], v[2:3], off
.LBB13_11:
	s_or_b64 exec, exec, s[4:5]
	v_bfe_u32 v6, v16, 3, 3
	v_cmp_lt_i32_e32 vcc, 0, v6
	s_mov_b64 s[34:35], -1
                                        ; implicit-def: $vgpr4_vgpr5
	s_and_saveexec_b64 s[4:5], vcc
	s_cbranch_execz .LBB13_19
; %bb.12:
	v_cmp_lt_i32_e32 vcc, 3, v6
	s_mov_b64 s[34:35], 0
	s_and_saveexec_b64 s[36:37], vcc
	s_xor_b64 s[36:37], exec, s[36:37]
; %bb.13:
	v_cmp_eq_u32_e32 vcc, 4, v6
	s_and_b64 s[34:35], vcc, exec
                                        ; implicit-def: $vgpr6
; %bb.14:
	s_or_saveexec_b64 s[36:37], s[36:37]
	v_mov_b64_e32 v[4:5], 0
	s_xor_b64 exec, exec, s[36:37]
	s_cbranch_execz .LBB13_18
; %bb.15:
	v_cmp_eq_u32_e32 vcc, 1, v6
	v_mov_b64_e32 v[4:5], 0
	s_and_saveexec_b64 s[44:45], vcc
	s_cbranch_execz .LBB13_17
; %bb.16:
	s_waitcnt vmcnt(0)
	v_mov_b64_e32 v[4:5], v[0:1]
.LBB13_17:
	s_or_b64 exec, exec, s[44:45]
.LBB13_18:
	s_or_b64 exec, exec, s[36:37]
	s_orn2_b64 s[34:35], s[34:35], exec
.LBB13_19:
	s_or_b64 exec, exec, s[4:5]
	s_and_saveexec_b64 s[4:5], s[34:35]
	s_cbranch_execz .LBB13_21
; %bb.20:
	v_lshl_add_u64 v[4:5], v[8:9], 2, s[38:39]
	global_load_dword v4, v[4:5], off
	s_waitcnt vmcnt(0)
	v_ashrrev_i32_e32 v5, 31, v4
	v_lshl_add_u64 v[4:5], v[4:5], 3, s[24:25]
	global_load_dwordx2 v[4:5], v[4:5], off
.LBB13_21:
	s_or_b64 exec, exec, s[4:5]
	v_lshl_add_u64 v[6:7], v[8:9], 3, s[16:17]
	global_load_dwordx2 v[6:7], v[6:7], off
	v_bfe_u32 v10, v16, 6, 3
	v_cmp_lt_i32_e32 vcc, 0, v10
	s_mov_b64 s[24:25], -1
                                        ; implicit-def: $vgpr14_vgpr15
	s_and_saveexec_b64 s[4:5], vcc
	s_cbranch_execz .LBB13_29
; %bb.22:
	v_cmp_lt_i32_e32 vcc, 3, v10
	s_mov_b64 s[34:35], 0
	s_mov_b64 s[24:25], 0
	s_and_saveexec_b64 s[36:37], vcc
	s_xor_b64 s[36:37], exec, s[36:37]
; %bb.23:
	v_cmp_ne_u32_e32 vcc, 4, v10
	s_mov_b64 s[24:25], exec
	s_and_b64 s[34:35], vcc, exec
                                        ; implicit-def: $vgpr10
; %bb.24:
	s_andn2_saveexec_b64 s[36:37], s[36:37]
; %bb.25:
	v_cmp_ne_u32_e32 vcc, 1, v10
	s_andn2_b64 s[34:35], s[34:35], exec
	s_and_b64 s[38:39], vcc, exec
	s_or_b64 s[34:35], s[34:35], s[38:39]
; %bb.26:
	s_or_b64 exec, exec, s[36:37]
	s_waitcnt vmcnt(0)
	v_mov_b64_e32 v[14:15], v[6:7]
	s_and_saveexec_b64 s[36:37], s[34:35]
	s_xor_b64 s[34:35], exec, s[36:37]
; %bb.27:
	v_mov_b64_e32 v[14:15], 0
	s_andn2_b64 s[24:25], s[24:25], exec
; %bb.28:
	s_or_b64 exec, exec, s[34:35]
	s_orn2_b64 s[24:25], s[24:25], exec
.LBB13_29:
	s_or_b64 exec, exec, s[4:5]
	s_and_saveexec_b64 s[4:5], s[24:25]
	s_cbranch_execz .LBB13_31
; %bb.30:
	v_lshl_add_u64 v[10:11], v[8:9], 2, s[30:31]
	global_load_dword v10, v[10:11], off
	s_waitcnt vmcnt(0)
	v_ashrrev_i32_e32 v11, 31, v10
	v_lshl_add_u64 v[10:11], v[10:11], 3, s[16:17]
	global_load_dwordx2 v[14:15], v[10:11], off
.LBB13_31:
	s_or_b64 exec, exec, s[4:5]
	v_bfe_u32 v10, v16, 9, 3
	v_cmp_lt_i32_e32 vcc, 0, v10
	s_mov_b64 s[24:25], -1
                                        ; implicit-def: $vgpr18_vgpr19
	s_and_saveexec_b64 s[4:5], vcc
	s_cbranch_execz .LBB13_39
; %bb.32:
	v_cmp_lt_i32_e32 vcc, 3, v10
	s_mov_b64 s[24:25], 0
	s_and_saveexec_b64 s[30:31], vcc
	s_xor_b64 s[30:31], exec, s[30:31]
; %bb.33:
	v_cmp_eq_u32_e32 vcc, 4, v10
	s_and_b64 s[24:25], vcc, exec
                                        ; implicit-def: $vgpr10
; %bb.34:
	s_or_saveexec_b64 s[30:31], s[30:31]
	v_mov_b64_e32 v[18:19], 0
	s_xor_b64 exec, exec, s[30:31]
	s_cbranch_execz .LBB13_38
; %bb.35:
	v_cmp_eq_u32_e32 vcc, 1, v10
	v_mov_b64_e32 v[18:19], 0
	s_and_saveexec_b64 s[34:35], vcc
	s_cbranch_execz .LBB13_37
; %bb.36:
	s_waitcnt vmcnt(0)
	v_mov_b64_e32 v[18:19], v[6:7]
.LBB13_37:
	s_or_b64 exec, exec, s[34:35]
.LBB13_38:
	s_or_b64 exec, exec, s[30:31]
	s_orn2_b64 s[24:25], s[24:25], exec
.LBB13_39:
	s_or_b64 exec, exec, s[4:5]
	s_and_saveexec_b64 s[4:5], s[24:25]
	s_cbranch_execz .LBB13_41
; %bb.40:
	v_lshl_add_u64 v[10:11], v[8:9], 2, s[28:29]
	global_load_dword v10, v[10:11], off
	s_waitcnt vmcnt(0)
	v_ashrrev_i32_e32 v11, 31, v10
	v_lshl_add_u64 v[10:11], v[10:11], 3, s[16:17]
	global_load_dwordx2 v[18:19], v[10:11], off
.LBB13_41:
	s_or_b64 exec, exec, s[4:5]
	v_lshl_add_u64 v[10:11], v[8:9], 3, s[20:21]
	global_load_dwordx2 v[10:11], v[10:11], off
	v_bfe_u32 v17, v16, 12, 3
	v_cmp_lt_i32_e32 vcc, 0, v17
	s_mov_b64 s[16:17], -1
                                        ; implicit-def: $vgpr12_vgpr13
	s_and_saveexec_b64 s[4:5], vcc
	s_cbranch_execz .LBB13_49
; %bb.42:
	v_cmp_lt_i32_e32 vcc, 3, v17
	s_mov_b64 s[24:25], 0
	s_mov_b64 s[16:17], 0
	s_and_saveexec_b64 s[28:29], vcc
	s_xor_b64 s[28:29], exec, s[28:29]
; %bb.43:
	v_cmp_ne_u32_e32 vcc, 4, v17
	s_mov_b64 s[16:17], exec
	s_and_b64 s[24:25], vcc, exec
                                        ; implicit-def: $vgpr17
; %bb.44:
	s_andn2_saveexec_b64 s[28:29], s[28:29]
; %bb.45:
	v_cmp_ne_u32_e32 vcc, 1, v17
	s_andn2_b64 s[24:25], s[24:25], exec
	s_and_b64 s[30:31], vcc, exec
	s_or_b64 s[24:25], s[24:25], s[30:31]
; %bb.46:
	s_or_b64 exec, exec, s[28:29]
	s_waitcnt vmcnt(0)
	v_mov_b64_e32 v[12:13], v[10:11]
	s_and_saveexec_b64 s[28:29], s[24:25]
	s_xor_b64 s[24:25], exec, s[28:29]
; %bb.47:
	v_mov_b64_e32 v[12:13], 0
	s_andn2_b64 s[16:17], s[16:17], exec
; %bb.48:
	s_or_b64 exec, exec, s[24:25]
	s_orn2_b64 s[16:17], s[16:17], exec
.LBB13_49:
	s_or_b64 exec, exec, s[4:5]
	s_and_saveexec_b64 s[4:5], s[16:17]
	s_cbranch_execz .LBB13_51
; %bb.50:
	v_lshl_add_u64 v[12:13], v[8:9], 2, s[40:41]
	global_load_dword v12, v[12:13], off
	s_waitcnt vmcnt(0)
	v_ashrrev_i32_e32 v13, 31, v12
	v_lshl_add_u64 v[12:13], v[12:13], 3, s[20:21]
	global_load_dwordx2 v[12:13], v[12:13], off
.LBB13_51:
	s_or_b64 exec, exec, s[4:5]
	v_bfe_u32 v20, v16, 15, 3
	v_cmp_lt_i32_e32 vcc, 0, v20
	s_mov_b64 s[16:17], -1
                                        ; implicit-def: $vgpr16_vgpr17
	s_and_saveexec_b64 s[4:5], vcc
	s_cbranch_execz .LBB13_59
; %bb.52:
	v_cmp_lt_i32_e32 vcc, 3, v20
	s_mov_b64 s[16:17], 0
	s_and_saveexec_b64 s[24:25], vcc
	s_xor_b64 s[24:25], exec, s[24:25]
; %bb.53:
	v_cmp_eq_u32_e32 vcc, 4, v20
	s_and_b64 s[16:17], vcc, exec
                                        ; implicit-def: $vgpr20
; %bb.54:
	s_or_saveexec_b64 s[24:25], s[24:25]
	v_mov_b64_e32 v[16:17], 0
	s_xor_b64 exec, exec, s[24:25]
	s_cbranch_execz .LBB13_58
; %bb.55:
	v_cmp_eq_u32_e32 vcc, 1, v20
	v_mov_b64_e32 v[16:17], 0
	s_and_saveexec_b64 s[28:29], vcc
	s_cbranch_execz .LBB13_57
; %bb.56:
	s_waitcnt vmcnt(0)
	v_mov_b64_e32 v[16:17], v[10:11]
.LBB13_57:
	s_or_b64 exec, exec, s[28:29]
.LBB13_58:
	s_or_b64 exec, exec, s[24:25]
	s_orn2_b64 s[16:17], s[16:17], exec
.LBB13_59:
	s_or_b64 exec, exec, s[4:5]
	s_and_saveexec_b64 s[4:5], s[16:17]
	s_cbranch_execz .LBB13_61
; %bb.60:
	v_lshl_add_u64 v[16:17], v[8:9], 2, s[42:43]
	global_load_dword v16, v[16:17], off
	s_waitcnt vmcnt(0)
	v_ashrrev_i32_e32 v17, 31, v16
	v_lshl_add_u64 v[16:17], v[16:17], 3, s[20:21]
	global_load_dwordx2 v[16:17], v[16:17], off
.LBB13_61:
	s_or_b64 exec, exec, s[4:5]
	v_lshl_add_u64 v[20:21], v[8:9], 3, s[12:13]
	global_load_dwordx2 v[20:21], v[20:21], off
	v_mov_b64_e32 v[22:23], 0
	v_lshlrev_b64 v[8:9], 3, v[8:9]
	s_waitcnt vmcnt(0)
	v_cmp_nlt_f64_e32 vcc, 0, v[20:21]
	v_mov_b64_e32 v[20:21], 0
	s_and_saveexec_b64 s[4:5], vcc
	s_cbranch_execz .LBB13_63
; %bb.62:
	s_mov_b32 s12, 0x932d2e72
	s_mov_b32 s13, 0x38754484
	v_add_f64 v[20:21], v[6:7], s[12:13]
	v_div_scale_f64 v[22:23], s[16:17], v[20:21], v[20:21], 1.0
	v_rcp_f64_e32 v[24:25], v[22:23]
	s_load_dwordx8 s[36:43], s[0:1], 0x98
	v_lshl_add_u64 v[30:31], s[2:3], 0, v[8:9]
	v_fma_f64 v[26:27], -v[22:23], v[24:25], 1.0
	v_fmac_f64_e32 v[24:25], v[24:25], v[26:27]
	v_fma_f64 v[26:27], -v[22:23], v[24:25], 1.0
	v_fmac_f64_e32 v[24:25], v[24:25], v[26:27]
	v_div_scale_f64 v[26:27], vcc, 1.0, v[20:21], 1.0
	v_mul_f64 v[28:29], v[26:27], v[24:25]
	v_fma_f64 v[22:23], -v[22:23], v[28:29], v[26:27]
	v_lshl_add_u64 v[26:27], s[6:7], 0, v[8:9]
	s_nop 0
	v_div_fmas_f64 v[22:23], v[22:23], v[24:25], v[28:29]
	v_div_fixup_f64 v[20:21], v[22:23], v[20:21], 1.0
	v_mul_f64 v[18:19], v[20:21], v[18:19]
	v_mul_f64 v[22:23], v[20:21], v[14:15]
	v_fma_f64 v[14:15], v[20:21], v[14:15], v[18:19]
	v_mul_f64 v[14:15], v[14:15], 0.5
	s_waitcnt lgkmcnt(0)
	v_mul_f64 v[20:21], s[36:37], v[22:23]
	v_cmp_lt_f64_e32 vcc, v[20:21], v[14:15]
	v_mul_f64 v[18:19], s[36:37], v[18:19]
	v_lshl_add_u64 v[28:29], s[14:15], 0, v[8:9]
	v_cndmask_b32_e32 v15, v15, v21, vcc
	v_cndmask_b32_e32 v14, v14, v20, vcc
	v_cmp_lt_f64_e32 vcc, v[18:19], v[14:15]
	v_lshl_add_u64 v[20:21], s[18:19], 0, v[8:9]
	v_lshl_add_u64 v[22:23], s[22:23], 0, v[8:9]
	v_cndmask_b32_e32 v15, v15, v19, vcc
	v_cndmask_b32_e32 v14, v14, v18, vcc
	v_lshl_add_u64 v[18:19], s[26:27], 0, v[8:9]
	global_load_dwordx2 v[28:29], v[28:29], off
	v_add_f64 v[24:25], v[10:11], s[12:13]
	global_load_dwordx2 v[18:19], v[18:19], off
	v_cmp_ngt_f64_e32 vcc, 0, v[14:15]
	global_load_dwordx2 v[20:21], v[20:21], off
	v_mov_b32_e32 v44, s39
	global_load_dwordx2 v[22:23], v[22:23], off
	s_nop 0
	global_load_dwordx2 v[32:33], v[30:31], off
	global_load_dwordx2 v[34:35], v[26:27], off
	v_div_scale_f64 v[26:27], s[0:1], v[24:25], v[24:25], 1.0
	v_rcp_f64_e32 v[30:31], v[26:27]
	v_cndmask_b32_e32 v15, 0, v15, vcc
	v_cndmask_b32_e32 v14, 0, v14, vcc
	v_cmp_lt_f64_e32 vcc, s[38:39], v[14:15]
	v_fma_f64 v[36:37], -v[26:27], v[30:31], 1.0
	v_fmac_f64_e32 v[30:31], v[30:31], v[36:37]
	v_mov_b32_e32 v45, s38
	v_fma_f64 v[36:37], -v[26:27], v[30:31], 1.0
	v_cndmask_b32_e32 v15, v15, v44, vcc
	v_cndmask_b32_e32 v14, v14, v45, vcc
	v_fmac_f64_e32 v[30:31], v[30:31], v[36:37]
	v_div_scale_f64 v[36:37], vcc, 1.0, v[24:25], 1.0
	v_mul_f64 v[38:39], v[36:37], v[30:31]
	v_fma_f64 v[26:27], -v[26:27], v[38:39], v[36:37]
	v_add_f64 v[36:37], v[0:1], s[12:13]
	v_div_scale_f64 v[40:41], s[0:1], v[36:37], v[36:37], 1.0
	v_rcp_f64_e32 v[42:43], v[40:41]
	v_div_fmas_f64 v[26:27], v[26:27], v[30:31], v[38:39]
	v_div_fixup_f64 v[24:25], v[26:27], v[24:25], 1.0
	v_fma_f64 v[26:27], -v[40:41], v[42:43], 1.0
	v_fmac_f64_e32 v[42:43], v[42:43], v[26:27]
	v_fma_f64 v[26:27], -v[40:41], v[42:43], 1.0
	v_fmac_f64_e32 v[42:43], v[42:43], v[26:27]
	v_div_scale_f64 v[26:27], vcc, 1.0, v[36:37], 1.0
	v_mul_f64 v[30:31], v[26:27], v[42:43]
	v_fma_f64 v[26:27], -v[40:41], v[30:31], v[26:27]
	s_waitcnt vmcnt(4)
	v_mul_f64 v[0:1], v[0:1], v[18:19]
	v_div_fmas_f64 v[26:27], v[26:27], v[42:43], v[30:31]
	v_div_fixup_f64 v[26:27], v[26:27], v[36:37], 1.0
	v_mul_f64 v[4:5], v[26:27], v[4:5]
	v_mul_f64 v[30:31], v[26:27], v[2:3]
	v_fma_f64 v[2:3], v[26:27], v[2:3], v[4:5]
	v_mul_f64 v[2:3], v[2:3], 0.5
	v_mul_f64 v[26:27], s[36:37], v[30:31]
	v_cmp_lt_f64_e32 vcc, v[26:27], v[2:3]
	v_mul_f64 v[4:5], s[36:37], v[4:5]
	s_waitcnt vmcnt(3)
	v_mul_f64 v[6:7], v[6:7], v[20:21]
	v_cndmask_b32_e32 v3, v3, v27, vcc
	v_cndmask_b32_e32 v2, v2, v26, vcc
	v_cmp_lt_f64_e32 vcc, v[4:5], v[2:3]
	v_mul_f64 v[26:27], v[24:25], v[12:13]
	v_mul_f64 v[26:27], s[36:37], v[26:27]
	v_cndmask_b32_e32 v3, v3, v5, vcc
	v_cndmask_b32_e32 v2, v2, v4, vcc
	v_cmp_ngt_f64_e32 vcc, 0, v[2:3]
	v_mul_f64 v[4:5], v[24:25], v[16:17]
	v_mul_f64 v[16:17], s[36:37], v[4:5]
	v_cndmask_b32_e32 v3, 0, v3, vcc
	v_cndmask_b32_e32 v2, 0, v2, vcc
	v_fmac_f64_e32 v[4:5], v[24:25], v[12:13]
	v_cmp_lt_f64_e32 vcc, s[38:39], v[2:3]
	v_mul_f64 v[4:5], v[4:5], 0.5
	s_waitcnt vmcnt(1)
	v_mul_f64 v[12:13], v[28:29], v[32:33]
	v_cndmask_b32_e32 v3, v3, v44, vcc
	v_cndmask_b32_e32 v2, v2, v45, vcc
	v_cmp_lt_f64_e32 vcc, v[26:27], v[4:5]
	v_mul_f64 v[10:11], v[10:11], v[22:23]
	s_nop 0
	v_cndmask_b32_e32 v5, v5, v27, vcc
	v_cndmask_b32_e32 v4, v4, v26, vcc
	v_cmp_lt_f64_e32 vcc, v[16:17], v[4:5]
	s_nop 1
	v_cndmask_b32_e32 v5, v5, v17, vcc
	v_cndmask_b32_e32 v4, v4, v16, vcc
	s_waitcnt vmcnt(0)
	v_div_scale_f64 v[16:17], s[0:1], v[12:13], v[12:13], v[34:35]
	v_rcp_f64_e32 v[18:19], v[16:17]
	v_cmp_ngt_f64_e32 vcc, 0, v[4:5]
	v_fma_f64 v[20:21], -v[16:17], v[18:19], 1.0
	s_nop 0
	v_cndmask_b32_e32 v5, 0, v5, vcc
	v_cndmask_b32_e32 v4, 0, v4, vcc
	v_cmp_lt_f64_e32 vcc, s[38:39], v[4:5]
	v_fmac_f64_e32 v[18:19], v[18:19], v[20:21]
	v_fma_f64 v[20:21], -v[16:17], v[18:19], 1.0
	v_cndmask_b32_e32 v5, v5, v44, vcc
	v_cndmask_b32_e32 v4, v4, v45, vcc
	v_cmp_nlt_f64_e32 vcc, 0, v[0:1]
	v_fmac_f64_e32 v[18:19], v[18:19], v[20:21]
	s_nop 0
	v_cndmask_b32_e32 v1, 0, v1, vcc
	v_cndmask_b32_e32 v0, 0, v0, vcc
	v_cmp_nlt_f64_e32 vcc, 0, v[6:7]
	s_nop 1
	v_cndmask_b32_e32 v7, 0, v7, vcc
	v_cndmask_b32_e32 v6, 0, v6, vcc
	v_cmp_nlt_f64_e32 vcc, 0, v[10:11]
	s_nop 1
	v_cndmask_b32_e32 v11, 0, v11, vcc
	v_cndmask_b32_e32 v10, 0, v10, vcc
	v_div_scale_f64 v[20:21], vcc, v[34:35], v[12:13], v[34:35]
	v_mul_f64 v[22:23], v[20:21], v[18:19]
	v_fma_f64 v[16:17], -v[16:17], v[22:23], v[20:21]
	v_add_f64 v[20:21], -v[14:15], 1.0
	s_nop 0
	v_div_fmas_f64 v[16:17], v[16:17], v[18:19], v[22:23]
	v_add_f64 v[18:19], -v[2:3], 1.0
	v_mul_f64 v[20:21], v[20:21], v[6:7]
	v_mul_f64 v[6:7], v[6:7], v[6:7]
	v_fma_f64 v[14:15], -v[14:15], v[14:15], 1.0
	v_fmac_f64_e32 v[20:21], v[18:19], v[0:1]
	v_mul_f64 v[0:1], v[0:1], v[0:1]
	v_fma_f64 v[2:3], -v[2:3], v[2:3], 1.0
	v_mul_f64 v[6:7], v[14:15], v[6:7]
	v_div_fixup_f64 v[12:13], v[16:17], v[12:13], v[34:35]
	v_add_f64 v[18:19], -v[4:5], 1.0
	v_fmac_f64_e32 v[6:7], v[2:3], v[0:1]
	v_mul_f64 v[0:1], v[10:11], v[10:11]
	v_fma_f64 v[2:3], -v[4:5], v[4:5], 1.0
	v_mul_f64 v[16:17], v[12:13], -s[40:41]
	v_fmac_f64_e32 v[20:21], v[18:19], v[10:11]
	v_mul_f64 v[12:13], s[42:43], v[12:13]
	v_fmac_f64_e32 v[6:7], v[2:3], v[0:1]
	v_mul_f64 v[20:21], v[20:21], v[16:17]
	v_mul_f64 v[22:23], v[12:13], v[6:7]
.LBB13_63:
	s_or_b64 exec, exec, s[4:5]
	v_lshl_add_u64 v[0:1], s[10:11], 0, v[8:9]
	global_store_dwordx2 v[0:1], v[22:23], off
	v_lshl_add_u64 v[0:1], s[8:9], 0, v[8:9]
	global_store_dwordx2 v[0:1], v[20:21], off
.LBB13_64:
	s_endpgm
	.section	.rodata,"a",@progbits
	.p2align	6, 0x0
	.amdhsa_kernel _Z22calcMonotonicQForElemsPKiPKdPdS3_S2_S2_S2_S2_S2_S2_S2_S2_S0_S0_S0_S0_S0_S0_S2_ddddi
		.amdhsa_group_segment_fixed_size 0
		.amdhsa_private_segment_fixed_size 0
		.amdhsa_kernarg_size 448
		.amdhsa_user_sgpr_count 2
		.amdhsa_user_sgpr_dispatch_ptr 0
		.amdhsa_user_sgpr_queue_ptr 0
		.amdhsa_user_sgpr_kernarg_segment_ptr 1
		.amdhsa_user_sgpr_dispatch_id 0
		.amdhsa_user_sgpr_kernarg_preload_length 0
		.amdhsa_user_sgpr_kernarg_preload_offset 0
		.amdhsa_user_sgpr_private_segment_size 0
		.amdhsa_uses_dynamic_stack 0
		.amdhsa_enable_private_segment 0
		.amdhsa_system_sgpr_workgroup_id_x 1
		.amdhsa_system_sgpr_workgroup_id_y 0
		.amdhsa_system_sgpr_workgroup_id_z 0
		.amdhsa_system_sgpr_workgroup_info 0
		.amdhsa_system_vgpr_workitem_id 0
		.amdhsa_next_free_vgpr 46
		.amdhsa_next_free_sgpr 50
		.amdhsa_accum_offset 48
		.amdhsa_reserve_vcc 1
		.amdhsa_float_round_mode_32 0
		.amdhsa_float_round_mode_16_64 0
		.amdhsa_float_denorm_mode_32 3
		.amdhsa_float_denorm_mode_16_64 3
		.amdhsa_dx10_clamp 1
		.amdhsa_ieee_mode 1
		.amdhsa_fp16_overflow 0
		.amdhsa_tg_split 0
		.amdhsa_exception_fp_ieee_invalid_op 0
		.amdhsa_exception_fp_denorm_src 0
		.amdhsa_exception_fp_ieee_div_zero 0
		.amdhsa_exception_fp_ieee_overflow 0
		.amdhsa_exception_fp_ieee_underflow 0
		.amdhsa_exception_fp_ieee_inexact 0
		.amdhsa_exception_int_div_zero 0
	.end_amdhsa_kernel
	.text
.Lfunc_end13:
	.size	_Z22calcMonotonicQForElemsPKiPKdPdS3_S2_S2_S2_S2_S2_S2_S2_S2_S0_S0_S0_S0_S0_S0_S2_ddddi, .Lfunc_end13-_Z22calcMonotonicQForElemsPKiPKdPdS3_S2_S2_S2_S2_S2_S2_S2_S2_S0_S0_S0_S0_S0_S0_S2_ddddi
                                        ; -- End function
	.set _Z22calcMonotonicQForElemsPKiPKdPdS3_S2_S2_S2_S2_S2_S2_S2_S2_S0_S0_S0_S0_S0_S0_S2_ddddi.num_vgpr, 46
	.set _Z22calcMonotonicQForElemsPKiPKdPdS3_S2_S2_S2_S2_S2_S2_S2_S2_S0_S0_S0_S0_S0_S0_S2_ddddi.num_agpr, 0
	.set _Z22calcMonotonicQForElemsPKiPKdPdS3_S2_S2_S2_S2_S2_S2_S2_S2_S0_S0_S0_S0_S0_S0_S2_ddddi.numbered_sgpr, 50
	.set _Z22calcMonotonicQForElemsPKiPKdPdS3_S2_S2_S2_S2_S2_S2_S2_S2_S0_S0_S0_S0_S0_S0_S2_ddddi.num_named_barrier, 0
	.set _Z22calcMonotonicQForElemsPKiPKdPdS3_S2_S2_S2_S2_S2_S2_S2_S2_S0_S0_S0_S0_S0_S0_S2_ddddi.private_seg_size, 0
	.set _Z22calcMonotonicQForElemsPKiPKdPdS3_S2_S2_S2_S2_S2_S2_S2_S2_S0_S0_S0_S0_S0_S0_S2_ddddi.uses_vcc, 1
	.set _Z22calcMonotonicQForElemsPKiPKdPdS3_S2_S2_S2_S2_S2_S2_S2_S2_S0_S0_S0_S0_S0_S0_S2_ddddi.uses_flat_scratch, 0
	.set _Z22calcMonotonicQForElemsPKiPKdPdS3_S2_S2_S2_S2_S2_S2_S2_S2_S0_S0_S0_S0_S0_S0_S2_ddddi.has_dyn_sized_stack, 0
	.set _Z22calcMonotonicQForElemsPKiPKdPdS3_S2_S2_S2_S2_S2_S2_S2_S2_S0_S0_S0_S0_S0_S0_S2_ddddi.has_recursion, 0
	.set _Z22calcMonotonicQForElemsPKiPKdPdS3_S2_S2_S2_S2_S2_S2_S2_S2_S0_S0_S0_S0_S0_S0_S2_ddddi.has_indirect_call, 0
	.section	.AMDGPU.csdata,"",@progbits
; Kernel info:
; codeLenInByte = 2228
; TotalNumSgprs: 56
; NumVgprs: 46
; NumAgprs: 0
; TotalNumVgprs: 46
; ScratchSize: 0
; MemoryBound: 0
; FloatMode: 240
; IeeeMode: 1
; LDSByteSize: 0 bytes/workgroup (compile time only)
; SGPRBlocks: 6
; VGPRBlocks: 5
; NumSGPRsForWavesPerEU: 56
; NumVGPRsForWavesPerEU: 46
; AccumOffset: 48
; Occupancy: 8
; WaveLimiterHint : 1
; COMPUTE_PGM_RSRC2:SCRATCH_EN: 0
; COMPUTE_PGM_RSRC2:USER_SGPR: 2
; COMPUTE_PGM_RSRC2:TRAP_HANDLER: 0
; COMPUTE_PGM_RSRC2:TGID_X_EN: 1
; COMPUTE_PGM_RSRC2:TGID_Y_EN: 0
; COMPUTE_PGM_RSRC2:TGID_Z_EN: 0
; COMPUTE_PGM_RSRC2:TIDIG_COMP_CNT: 0
; COMPUTE_PGM_RSRC3_GFX90A:ACCUM_OFFSET: 11
; COMPUTE_PGM_RSRC3_GFX90A:TG_SPLIT: 0
	.text
	.protected	_Z31applyMaterialPropertiesForElemsPKdS0_S0_PKiS2_PdS3_S3_S3_S3_S3_ddddddddddi ; -- Begin function _Z31applyMaterialPropertiesForElemsPKdS0_S0_PKiS2_PdS3_S3_S3_S3_S3_ddddddddddi
	.globl	_Z31applyMaterialPropertiesForElemsPKdS0_S0_PKiS2_PdS3_S3_S3_S3_S3_ddddddddddi
	.p2align	8
	.type	_Z31applyMaterialPropertiesForElemsPKdS0_S0_PKiS2_PdS3_S3_S3_S3_S3_ddddddddddi,@function
_Z31applyMaterialPropertiesForElemsPKdS0_S0_PKiS2_PdS3_S3_S3_S3_S3_ddddddddddi: ; @_Z31applyMaterialPropertiesForElemsPKdS0_S0_PKiS2_PdS3_S3_S3_S3_S3_ddddddddddi
; %bb.0:
	s_load_dword s3, s[0:1], 0xbc
	s_load_dword s4, s[0:1], 0xa8
	s_waitcnt lgkmcnt(0)
	s_and_b32 s3, s3, 0xffff
	s_mul_i32 s2, s2, s3
	v_add_u32_e32 v2, s2, v0
	v_cmp_gt_i32_e32 vcc, s4, v2
	s_and_saveexec_b64 s[2:3], vcc
	s_cbranch_execz .LBB14_16
; %bb.1:
	s_load_dwordx2 s[2:3], s[0:1], 0x18
	v_ashrrev_i32_e32 v3, 31, v2
	s_waitcnt lgkmcnt(0)
	v_lshl_add_u64 v[0:1], v[2:3], 2, s[2:3]
	global_load_dword v28, v[0:1], off
	s_load_dwordx8 s[8:15], s[0:1], 0x70
	s_load_dwordx2 s[4:5], s[0:1], 0x50
	s_load_dwordx8 s[16:23], s[0:1], 0x90
	s_mov_b64 s[2:3], 0
	s_waitcnt lgkmcnt(0)
	v_cmp_neq_f64_e64 s[6:7], s[14:15], 0
	s_and_b64 vcc, exec, s[6:7]
	v_lshl_add_u64 v[4:5], v[2:3], 3, s[4:5]
	s_cbranch_vccnz .LBB14_3
; %bb.2:
	global_load_dwordx2 v[0:1], v[4:5], off
	s_andn2_b64 vcc, exec, s[2:3]
	s_cbranch_vccz .LBB14_4
	s_branch .LBB14_7
.LBB14_3:
                                        ; implicit-def: $vgpr0_vgpr1
.LBB14_4:
	global_load_dwordx2 v[0:1], v[4:5], off
	s_waitcnt vmcnt(0)
	v_cmp_gt_f64_e32 vcc, s[14:15], v[0:1]
	s_and_saveexec_b64 s[2:3], vcc
	s_cbranch_execz .LBB14_6
; %bb.5:
	v_mov_b64_e32 v[0:1], s[14:15]
	global_store_dwordx2 v[4:5], v[0:1], off
.LBB14_6:
	s_or_b64 exec, exec, s[2:3]
.LBB14_7:
	v_cmp_neq_f64_e64 s[2:3], s[12:13], 0
	s_waitcnt vmcnt(0)
	v_cmp_lt_f64_e32 vcc, s[12:13], v[0:1]
	s_and_b64 s[4:5], s[2:3], vcc
	s_and_saveexec_b64 s[2:3], s[4:5]
	s_cbranch_execz .LBB14_9
; %bb.8:
	v_mov_b64_e32 v[0:1], s[12:13]
	global_store_dwordx2 v[4:5], v[0:1], off
.LBB14_9:
	s_or_b64 exec, exec, s[2:3]
	s_load_dwordx4 s[4:7], s[0:1], 0x28
	s_load_dwordx2 s[2:3], s[0:1], 0x38
	v_lshlrev_b64 v[2:3], 3, v[2:3]
	v_cmp_gt_i32_e32 vcc, 1, v28
	v_mul_f64 v[6:7], v[0:1], v[0:1]
	s_and_saveexec_b64 s[22:23], vcc
	s_xor_b64 s[22:23], exec, s[22:23]
; %bb.10:
	v_mul_f64 v[6:7], v[0:1], v[0:1]
                                        ; implicit-def: $vgpr28
; %bb.11:
	s_or_saveexec_b64 s[22:23], s[22:23]
	s_waitcnt lgkmcnt(0)
	v_lshl_add_u64 v[8:9], s[2:3], 0, v[2:3]
	v_lshl_add_u64 v[10:11], s[6:7], 0, v[2:3]
	;; [unrolled: 1-line block ×3, first 2 shown]
                                        ; implicit-def: $vgpr24_vgpr25
                                        ; implicit-def: $vgpr12_vgpr13
                                        ; implicit-def: $vgpr18_vgpr19
                                        ; implicit-def: $vgpr20_vgpr21
	s_xor_b64 exec, exec, s[22:23]
	s_cbranch_execz .LBB14_15
; %bb.12:
	s_load_dwordx2 s[2:3], s[0:1], 0x10
	s_load_dwordx4 s[4:7], s[0:1], 0x0
	s_waitcnt lgkmcnt(0)
	v_lshl_add_u64 v[20:21], s[2:3], 0, v[2:3]
	v_lshl_add_u64 v[24:25], s[6:7], 0, v[2:3]
	;; [unrolled: 1-line block ×3, first 2 shown]
	global_load_dwordx2 v[14:15], v[20:21], off
	global_load_dwordx2 v[12:13], v[24:25], off
	;; [unrolled: 1-line block ×6, first 2 shown]
	s_mov_b64 s[2:3], 0
.LBB14_13:                              ; =>This Inner Loop Header: Depth=1
	v_add_u32_e32 v28, -1, v28
	v_cmp_eq_u32_e32 vcc, 0, v28
	s_or_b64 s[2:3], vcc, s[2:3]
	s_andn2_b64 exec, exec, s[2:3]
	s_cbranch_execnz .LBB14_13
; %bb.14:
	s_or_b64 exec, exec, s[2:3]
	v_div_scale_f64 v[20:21], s[2:3], v[0:1], v[0:1], 1.0
	v_rcp_f64_e32 v[24:25], v[20:21]
	s_load_dwordx4 s[24:27], s[0:1], 0x58
	s_mov_b32 s6, 0x55555555
	v_mov_b32_e32 v44, s19
	v_fma_f64 v[28:29], -v[20:21], v[24:25], 1.0
	v_fmac_f64_e32 v[24:25], v[24:25], v[28:29]
	v_fma_f64 v[28:29], -v[20:21], v[24:25], 1.0
	v_fmac_f64_e32 v[24:25], v[24:25], v[28:29]
	v_div_scale_f64 v[28:29], vcc, 1.0, v[0:1], 1.0
	v_mul_f64 v[30:31], v[28:29], v[24:25]
	v_fma_f64 v[20:21], -v[20:21], v[30:31], v[28:29]
	s_waitcnt vmcnt(5)
	v_fma_f64 v[28:29], -0.5, v[14:15], v[0:1]
	v_div_fmas_f64 v[20:21], v[20:21], v[24:25], v[30:31]
	v_div_scale_f64 v[30:31], s[2:3], v[28:29], v[28:29], 1.0
	v_rcp_f64_e32 v[32:33], v[30:31]
	v_cmp_le_f64_e64 s[2:3], s[12:13], v[0:1]
	v_div_fixup_f64 v[20:21], v[20:21], v[0:1], 1.0
	v_add_f64 v[20:21], v[20:21], -1.0
	v_fma_f64 v[34:35], -v[30:31], v[32:33], 1.0
	v_fmac_f64_e32 v[32:33], v[32:33], v[34:35]
	v_fma_f64 v[34:35], -v[30:31], v[32:33], 1.0
	v_fmac_f64_e32 v[32:33], v[32:33], v[34:35]
	v_div_scale_f64 v[34:35], vcc, 1.0, v[28:29], 1.0
	v_mul_f64 v[36:37], v[34:35], v[32:33]
	v_fma_f64 v[30:31], -v[30:31], v[36:37], v[34:35]
	s_waitcnt vmcnt(1)
	v_cndmask_b32_e64 v27, v27, 0, s[2:3]
	v_div_fmas_f64 v[30:31], v[30:31], v[32:33], v[36:37]
	v_div_fixup_f64 v[28:29], v[30:31], v[28:29], 1.0
	v_cndmask_b32_e64 v26, v26, 0, s[2:3]
	v_mul_f64 v[24:25], v[14:15], 0.5
	v_add_f64 v[28:29], v[28:29], -1.0
	v_cmp_nge_f64_e32 vcc, s[14:15], v[0:1]
	v_add_f64 v[18:19], v[26:27], v[18:19]
	s_waitcnt vmcnt(0)
	v_fma_f64 v[22:23], -v[24:25], v[18:19], v[22:23]
	v_cndmask_b32_e32 v29, v21, v29, vcc
	v_cndmask_b32_e32 v28, v20, v28, vcc
	v_add_f64 v[26:27], v[22:23], 0
	v_cmp_gt_f64_e32 vcc, s[18:19], v[22:23]
	v_add_f64 v[22:23], v[28:29], 1.0
	v_mov_b32_e32 v28, 0x3ff00000
	v_mov_b32_e32 v45, s18
	v_cndmask_b32_e64 v23, v23, v28, s[2:3]
	v_cndmask_b32_e64 v22, v22, 0, s[2:3]
	s_mov_b32 s7, 0x3fe55555
	v_cndmask_b32_e32 v27, v27, v44, vcc
	v_cndmask_b32_e32 v26, v26, v45, vcc
	v_mul_f64 v[28:29], v[22:23], s[6:7]
	v_mul_f64 v[30:31], v[26:27], v[28:29]
	s_waitcnt lgkmcnt(0)
	v_cmp_lt_f64_e64 s[4:5], |v[30:31]|, s[26:27]
	s_or_b64 s[4:5], s[2:3], s[4:5]
	v_mov_b32_e32 v46, s17
	v_cndmask_b32_e64 v31, v31, 0, s[4:5]
	v_cndmask_b32_e64 v30, v30, 0, s[4:5]
	v_div_scale_f64 v[32:33], s[4:5], v[22:23], v[22:23], 1.0
	v_rcp_f64_e32 v[34:35], v[32:33]
	v_cmp_gt_f64_e32 vcc, s[16:17], v[30:31]
	v_mov_b32_e32 v47, s16
	s_mov_b32 s14, 0
	v_fma_f64 v[36:37], -v[32:33], v[34:35], 1.0
	v_fmac_f64_e32 v[34:35], v[34:35], v[36:37]
	v_fma_f64 v[36:37], -v[32:33], v[34:35], 1.0
	v_cndmask_b32_e32 v31, v31, v46, vcc
	v_cndmask_b32_e32 v30, v30, v47, vcc
	v_fmac_f64_e32 v[34:35], v[34:35], v[36:37]
	v_div_scale_f64 v[36:37], vcc, 1.0, v[22:23], 1.0
	v_mul_f64 v[38:39], v[36:37], v[34:35]
	v_fma_f64 v[32:33], -v[32:33], v[38:39], v[36:37]
	s_brev_b32 s15, 8
	s_nop 0
	v_div_fmas_f64 v[32:33], v[32:33], v[34:35], v[38:39]
	v_div_fixup_f64 v[22:23], v[32:33], v[22:23], 1.0
	v_mul_f64 v[22:23], v[22:23], v[22:23]
	v_mul_f64 v[22:23], v[28:29], v[22:23]
	v_mul_f64 v[22:23], v[22:23], v[30:31]
	v_fmac_f64_e32 v[22:23], s[6:7], v[26:27]
	v_div_scale_f64 v[28:29], s[4:5], s[20:21], s[20:21], v[22:23]
	v_rcp_f64_e32 v[32:33], v[28:29]
	v_mov_b32_e32 v48, 0x100
	v_mov_b32_e32 v49, 0xffffff80
	s_mov_b32 s12, 0x2a37d1a0
	v_fma_f64 v[34:35], -v[28:29], v[32:33], 1.0
	v_fmac_f64_e32 v[32:33], v[32:33], v[34:35]
	v_fma_f64 v[34:35], -v[28:29], v[32:33], 1.0
	v_fmac_f64_e32 v[32:33], v[32:33], v[34:35]
	v_div_scale_f64 v[34:35], vcc, v[22:23], s[20:21], v[22:23]
	v_mul_f64 v[36:37], v[34:35], v[32:33]
	v_fma_f64 v[28:29], -v[28:29], v[36:37], v[34:35]
	v_mov_b32_e32 v50, 0x260
	s_nop 0
	v_div_fmas_f64 v[28:29], v[28:29], v[32:33], v[36:37]
	v_div_fixup_f64 v[22:23], v[28:29], s[20:21], v[22:23]
	v_cmp_gt_f64_e32 vcc, s[14:15], v[22:23]
	s_mov_b32 s13, 0x3842e792
	v_mov_b32_e32 v51, 0x3c18987c
	v_cndmask_b32_e32 v28, 0, v48, vcc
	v_ldexp_f64 v[28:29], v[22:23], v28
	v_rsq_f64_e32 v[32:33], v[28:29]
	v_mov_b32_e32 v52, 0xee7f439d
	v_cmp_lt_f64_e64 s[4:5], 0, v[14:15]
	v_add_f64 v[20:21], v[20:21], 1.0
	v_mul_f64 v[34:35], v[28:29], v[32:33]
	v_mul_f64 v[32:33], v[32:33], 0.5
	v_fma_f64 v[36:37], -v[32:33], v[34:35], 0.5
	v_fmac_f64_e32 v[34:35], v[34:35], v[36:37]
	v_fma_f64 v[38:39], -v[34:35], v[34:35], v[28:29]
	v_fmac_f64_e32 v[32:33], v[32:33], v[36:37]
	v_fmac_f64_e32 v[34:35], v[38:39], v[32:33]
	v_fma_f64 v[36:37], -v[34:35], v[34:35], v[28:29]
	v_fmac_f64_e32 v[34:35], v[36:37], v[32:33]
	v_cndmask_b32_e32 v32, 0, v49, vcc
	v_ldexp_f64 v[32:33], v[34:35], v32
	v_cmp_class_f64_e32 vcc, v[28:29], v50
	v_mul_f64 v[20:21], v[20:21], s[6:7]
	s_nop 0
	v_cndmask_b32_e32 v28, v32, v28, vcc
	v_cndmask_b32_e32 v29, v33, v29, vcc
	v_cmp_nge_f64_e32 vcc, s[12:13], v[22:23]
	s_nop 1
	v_cndmask_b32_e32 v23, v51, v29, vcc
	v_cndmask_b32_e32 v22, v52, v28, vcc
	v_fma_f64 v[22:23], v[16:17], v[22:23], v[12:13]
	v_cndmask_b32_e64 v23, v23, 0, s[4:5]
	v_cndmask_b32_e64 v22, v22, 0, s[4:5]
	v_add_f64 v[30:31], v[30:31], v[22:23]
	v_mul_f64 v[32:33], v[30:31], -4.0
	v_fmac_f64_e32 v[32:33], 0x40080000, v[18:19]
	v_fmac_f64_e32 v[26:27], v[24:25], v[32:33]
	v_add_f64 v[24:25], v[26:27], 0
	v_cmp_nlt_f64_e64 vcc, |v[24:25]|, s[24:25]
	v_mov_b32_e32 v28, 0x3fe55555
	v_cndmask_b32_e64 v21, v21, v28, s[2:3]
	v_cndmask_b32_e32 v25, 0, v25, vcc
	v_cndmask_b32_e32 v24, 0, v24, vcc
	v_mov_b32_e32 v28, 0x55555555
	v_cmp_gt_f64_e32 vcc, s[18:19], v[24:25]
	v_cndmask_b32_e64 v20, v20, v28, s[2:3]
	v_mul_f64 v[28:29], v[6:7], v[20:21]
	v_cndmask_b32_e32 v25, v25, v44, vcc
	v_cndmask_b32_e32 v24, v24, v45, vcc
	v_mul_f64 v[26:27], v[20:21], v[24:25]
	v_cmp_lt_f64_e64 s[28:29], |v[26:27]|, s[26:27]
	s_or_b64 s[28:29], s[2:3], s[28:29]
	v_ldexp_f64 v[30:31], -v[30:31], 3
	v_cndmask_b32_e64 v27, v27, 0, s[28:29]
	v_cndmask_b32_e64 v26, v26, 0, s[28:29]
	v_cmp_gt_f64_e32 vcc, s[16:17], v[26:27]
	v_fmac_f64_e32 v[30:31], 0x401c0000, v[18:19]
	s_nop 0
	v_cndmask_b32_e32 v27, v27, v46, vcc
	v_cndmask_b32_e32 v26, v26, v47, vcc
	v_mul_f64 v[32:33], v[28:29], v[26:27]
	v_fmac_f64_e32 v[32:33], s[6:7], v[24:25]
	v_div_scale_f64 v[34:35], s[28:29], s[20:21], s[20:21], v[32:33]
	v_rcp_f64_e32 v[36:37], v[34:35]
	s_nop 0
	v_fma_f64 v[38:39], -v[34:35], v[36:37], 1.0
	v_fmac_f64_e32 v[36:37], v[36:37], v[38:39]
	v_fma_f64 v[38:39], -v[34:35], v[36:37], 1.0
	v_fmac_f64_e32 v[36:37], v[36:37], v[38:39]
	v_div_scale_f64 v[38:39], vcc, v[32:33], s[20:21], v[32:33]
	v_mul_f64 v[40:41], v[38:39], v[36:37]
	v_fma_f64 v[34:35], -v[34:35], v[40:41], v[38:39]
	s_nop 1
	v_div_fmas_f64 v[34:35], v[34:35], v[36:37], v[40:41]
	v_div_fixup_f64 v[32:33], v[34:35], s[20:21], v[32:33]
	v_cmp_gt_f64_e32 vcc, s[14:15], v[32:33]
	s_nop 1
	v_cndmask_b32_e32 v34, 0, v48, vcc
	v_ldexp_f64 v[34:35], v[32:33], v34
	v_rsq_f64_e32 v[36:37], v[34:35]
	s_nop 0
	v_mul_f64 v[38:39], v[34:35], v[36:37]
	v_mul_f64 v[36:37], v[36:37], 0.5
	v_fma_f64 v[40:41], -v[36:37], v[38:39], 0.5
	v_fmac_f64_e32 v[38:39], v[38:39], v[40:41]
	v_fma_f64 v[42:43], -v[38:39], v[38:39], v[34:35]
	v_fmac_f64_e32 v[36:37], v[36:37], v[40:41]
	v_fmac_f64_e32 v[38:39], v[42:43], v[36:37]
	v_fma_f64 v[40:41], -v[38:39], v[38:39], v[34:35]
	v_fmac_f64_e32 v[38:39], v[40:41], v[36:37]
	v_cndmask_b32_e32 v36, 0, v49, vcc
	v_ldexp_f64 v[36:37], v[38:39], v36
	v_cmp_class_f64_e32 vcc, v[34:35], v50
	s_nop 1
	v_cndmask_b32_e32 v34, v36, v34, vcc
	v_cndmask_b32_e32 v35, v37, v35, vcc
	v_cmp_nge_f64_e32 vcc, s[12:13], v[32:33]
	s_nop 1
	v_cndmask_b32_e32 v33, v51, v35, vcc
	v_cndmask_b32_e32 v32, v52, v34, vcc
	v_fma_f64 v[32:33], v[16:17], v[32:33], v[12:13]
	v_cndmask_b32_e64 v19, v33, 0, s[4:5]
	v_cndmask_b32_e64 v18, v32, 0, s[4:5]
	v_add_f64 v[18:19], v[26:27], v[18:19]
	v_add_f64 v[18:19], v[30:31], v[18:19]
	v_mul_f64 v[18:19], v[14:15], v[18:19]
	s_mov_b32 s5, 0xbfc55555
	s_mov_b32 s4, s6
	v_fmac_f64_e32 v[24:25], s[4:5], v[18:19]
	v_cmp_nlt_f64_e64 vcc, |v[24:25]|, s[24:25]
	s_nop 1
	v_cndmask_b32_e32 v19, 0, v25, vcc
	v_cndmask_b32_e32 v18, 0, v24, vcc
	v_cmp_gt_f64_e32 vcc, s[18:19], v[18:19]
	s_nop 1
	v_cndmask_b32_e32 v19, v19, v44, vcc
	v_cndmask_b32_e32 v18, v18, v45, vcc
	v_mul_f64 v[24:25], v[20:21], v[18:19]
	v_cmp_lt_f64_e64 s[4:5], |v[24:25]|, s[26:27]
	s_or_b64 s[2:3], s[2:3], s[4:5]
	v_cndmask_b32_e64 v25, v25, 0, s[2:3]
	v_cndmask_b32_e64 v24, v24, 0, s[2:3]
	v_cmp_gt_f64_e32 vcc, s[16:17], v[24:25]
	s_nop 1
	v_cndmask_b32_e32 v25, v25, v46, vcc
	v_cndmask_b32_e32 v24, v24, v47, vcc
	v_mul_f64 v[26:27], v[28:29], v[24:25]
	v_fmac_f64_e32 v[26:27], s[6:7], v[18:19]
	v_div_scale_f64 v[28:29], s[2:3], s[20:21], s[20:21], v[26:27]
	v_rcp_f64_e32 v[30:31], v[28:29]
	s_nop 0
	v_fma_f64 v[32:33], -v[28:29], v[30:31], 1.0
	v_fmac_f64_e32 v[30:31], v[30:31], v[32:33]
	v_fma_f64 v[32:33], -v[28:29], v[30:31], 1.0
	v_fmac_f64_e32 v[30:31], v[30:31], v[32:33]
	v_div_scale_f64 v[32:33], vcc, v[26:27], s[20:21], v[26:27]
	v_mul_f64 v[34:35], v[32:33], v[30:31]
	v_fma_f64 v[28:29], -v[28:29], v[34:35], v[32:33]
	s_nop 1
	v_div_fmas_f64 v[28:29], v[28:29], v[30:31], v[34:35]
	v_div_fixup_f64 v[26:27], v[28:29], s[20:21], v[26:27]
	v_cmp_gt_f64_e32 vcc, s[14:15], v[26:27]
	s_nop 1
	v_cndmask_b32_e32 v28, 0, v48, vcc
	v_ldexp_f64 v[28:29], v[26:27], v28
	v_rsq_f64_e32 v[30:31], v[28:29]
	s_nop 0
	v_mul_f64 v[32:33], v[28:29], v[30:31]
	v_mul_f64 v[30:31], v[30:31], 0.5
	v_fma_f64 v[34:35], -v[30:31], v[32:33], 0.5
	v_fmac_f64_e32 v[32:33], v[32:33], v[34:35]
	v_fma_f64 v[36:37], -v[32:33], v[32:33], v[28:29]
	v_fmac_f64_e32 v[30:31], v[30:31], v[34:35]
	v_fmac_f64_e32 v[32:33], v[36:37], v[30:31]
	v_fma_f64 v[34:35], -v[32:33], v[32:33], v[28:29]
	v_fmac_f64_e32 v[32:33], v[34:35], v[30:31]
	v_cndmask_b32_e32 v30, 0, v49, vcc
	v_ldexp_f64 v[30:31], v[32:33], v30
	v_cmp_class_f64_e32 vcc, v[28:29], v50
	s_nop 1
	v_cndmask_b32_e32 v28, v30, v28, vcc
	v_cndmask_b32_e32 v29, v31, v29, vcc
	v_cmp_nge_f64_e32 vcc, s[12:13], v[26:27]
	s_nop 1
	v_cndmask_b32_e32 v27, v51, v29, vcc
	v_cndmask_b32_e32 v26, v52, v28, vcc
	v_fmac_f64_e32 v[12:13], v[16:17], v[26:27]
	v_cmp_nlt_f64_e64 s[2:3], |v[12:13]|, s[8:9]
	v_cmp_nge_f64_e32 vcc, 0, v[14:15]
	s_nop 1
	v_cndmask_b32_e32 v12, v12, v22, vcc
	v_cndmask_b32_e32 v13, v13, v23, vcc
	s_or_b64 vcc, vcc, s[2:3]
	v_cndmask_b32_e32 v13, 0, v13, vcc
	v_cndmask_b32_e32 v12, 0, v12, vcc
.LBB14_15:
	s_or_b64 exec, exec, s[22:23]
	s_load_dwordx4 s[4:7], s[0:1], 0x40
	v_mul_f64 v[6:7], v[6:7], v[20:21]
	s_mov_b32 s0, 0x55555555
	v_mul_f64 v[6:7], v[6:7], v[24:25]
	s_mov_b32 s1, 0x3fe55555
	v_fmac_f64_e32 v[6:7], s[0:1], v[18:19]
	v_div_scale_f64 v[14:15], s[0:1], s[20:21], s[20:21], v[6:7]
	v_rcp_f64_e32 v[16:17], v[14:15]
	global_store_dwordx2 v[10:11], v[24:25], off
	global_store_dwordx2 v[8:9], v[18:19], off
	s_mov_b32 s0, 0
	s_brev_b32 s1, 8
	v_fma_f64 v[8:9], -v[14:15], v[16:17], 1.0
	v_fmac_f64_e32 v[16:17], v[16:17], v[8:9]
	v_fma_f64 v[8:9], -v[14:15], v[16:17], 1.0
	v_fmac_f64_e32 v[16:17], v[16:17], v[8:9]
	v_div_scale_f64 v[8:9], vcc, v[6:7], s[20:21], v[6:7]
	v_mul_f64 v[10:11], v[8:9], v[16:17]
	v_fma_f64 v[8:9], -v[14:15], v[10:11], v[8:9]
	global_store_dwordx2 v[4:5], v[12:13], off
	s_nop 0
	v_div_fmas_f64 v[8:9], v[8:9], v[16:17], v[10:11]
	v_div_fixup_f64 v[6:7], v[8:9], s[20:21], v[6:7]
	v_mov_b32_e32 v8, 0x100
	v_cmp_gt_f64_e32 vcc, s[0:1], v[6:7]
	s_mov_b32 s0, 0x2a37d1a0
	s_mov_b32 s1, 0x3842e792
	v_cndmask_b32_e32 v8, 0, v8, vcc
	v_ldexp_f64 v[8:9], v[6:7], v8
	v_rsq_f64_e32 v[10:11], v[8:9]
	s_waitcnt lgkmcnt(0)
	v_lshl_add_u64 v[20:21], s[6:7], 0, v[2:3]
	v_lshl_add_u64 v[2:3], s[4:5], 0, v[2:3]
	v_mul_f64 v[4:5], v[8:9], v[10:11]
	v_mul_f64 v[10:11], v[10:11], 0.5
	v_fma_f64 v[12:13], -v[10:11], v[4:5], 0.5
	v_fmac_f64_e32 v[4:5], v[4:5], v[12:13]
	v_fma_f64 v[14:15], -v[4:5], v[4:5], v[8:9]
	v_fmac_f64_e32 v[10:11], v[10:11], v[12:13]
	v_fmac_f64_e32 v[4:5], v[14:15], v[10:11]
	v_fma_f64 v[12:13], -v[4:5], v[4:5], v[8:9]
	v_fmac_f64_e32 v[4:5], v[12:13], v[10:11]
	v_mov_b32_e32 v10, 0xffffff80
	v_cndmask_b32_e32 v10, 0, v10, vcc
	v_ldexp_f64 v[4:5], v[4:5], v10
	v_mov_b32_e32 v10, 0x260
	v_cmp_class_f64_e32 vcc, v[8:9], v10
	s_nop 1
	v_cndmask_b32_e32 v4, v4, v8, vcc
	v_cndmask_b32_e32 v5, v5, v9, vcc
	v_mov_b32_e32 v8, 0x3c18987c
	v_cmp_nge_f64_e32 vcc, s[0:1], v[6:7]
	v_mov_b32_e32 v6, 0xee7f439d
	s_nop 0
	v_cndmask_b32_e32 v5, v8, v5, vcc
	v_cndmask_b32_e32 v4, v6, v4, vcc
	global_store_dwordx2 v[2:3], v[4:5], off
	v_add_f64 v[2:3], v[0:1], -1.0
	v_mov_b32_e32 v4, 0x3ff00000
	v_cmp_nlt_f64_e64 vcc, |v[2:3]|, s[10:11]
	s_nop 1
	v_cndmask_b32_e32 v1, v4, v1, vcc
	v_cndmask_b32_e32 v0, 0, v0, vcc
	global_store_dwordx2 v[20:21], v[0:1], off
.LBB14_16:
	s_endpgm
	.section	.rodata,"a",@progbits
	.p2align	6, 0x0
	.amdhsa_kernel _Z31applyMaterialPropertiesForElemsPKdS0_S0_PKiS2_PdS3_S3_S3_S3_S3_ddddddddddi
		.amdhsa_group_segment_fixed_size 0
		.amdhsa_private_segment_fixed_size 0
		.amdhsa_kernarg_size 432
		.amdhsa_user_sgpr_count 2
		.amdhsa_user_sgpr_dispatch_ptr 0
		.amdhsa_user_sgpr_queue_ptr 0
		.amdhsa_user_sgpr_kernarg_segment_ptr 1
		.amdhsa_user_sgpr_dispatch_id 0
		.amdhsa_user_sgpr_kernarg_preload_length 0
		.amdhsa_user_sgpr_kernarg_preload_offset 0
		.amdhsa_user_sgpr_private_segment_size 0
		.amdhsa_uses_dynamic_stack 0
		.amdhsa_enable_private_segment 0
		.amdhsa_system_sgpr_workgroup_id_x 1
		.amdhsa_system_sgpr_workgroup_id_y 0
		.amdhsa_system_sgpr_workgroup_id_z 0
		.amdhsa_system_sgpr_workgroup_info 0
		.amdhsa_system_vgpr_workitem_id 0
		.amdhsa_next_free_vgpr 53
		.amdhsa_next_free_sgpr 30
		.amdhsa_accum_offset 56
		.amdhsa_reserve_vcc 1
		.amdhsa_float_round_mode_32 0
		.amdhsa_float_round_mode_16_64 0
		.amdhsa_float_denorm_mode_32 3
		.amdhsa_float_denorm_mode_16_64 3
		.amdhsa_dx10_clamp 1
		.amdhsa_ieee_mode 1
		.amdhsa_fp16_overflow 0
		.amdhsa_tg_split 0
		.amdhsa_exception_fp_ieee_invalid_op 0
		.amdhsa_exception_fp_denorm_src 0
		.amdhsa_exception_fp_ieee_div_zero 0
		.amdhsa_exception_fp_ieee_overflow 0
		.amdhsa_exception_fp_ieee_underflow 0
		.amdhsa_exception_fp_ieee_inexact 0
		.amdhsa_exception_int_div_zero 0
	.end_amdhsa_kernel
	.text
.Lfunc_end14:
	.size	_Z31applyMaterialPropertiesForElemsPKdS0_S0_PKiS2_PdS3_S3_S3_S3_S3_ddddddddddi, .Lfunc_end14-_Z31applyMaterialPropertiesForElemsPKdS0_S0_PKiS2_PdS3_S3_S3_S3_S3_ddddddddddi
                                        ; -- End function
	.set _Z31applyMaterialPropertiesForElemsPKdS0_S0_PKiS2_PdS3_S3_S3_S3_S3_ddddddddddi.num_vgpr, 53
	.set _Z31applyMaterialPropertiesForElemsPKdS0_S0_PKiS2_PdS3_S3_S3_S3_S3_ddddddddddi.num_agpr, 0
	.set _Z31applyMaterialPropertiesForElemsPKdS0_S0_PKiS2_PdS3_S3_S3_S3_S3_ddddddddddi.numbered_sgpr, 30
	.set _Z31applyMaterialPropertiesForElemsPKdS0_S0_PKiS2_PdS3_S3_S3_S3_S3_ddddddddddi.num_named_barrier, 0
	.set _Z31applyMaterialPropertiesForElemsPKdS0_S0_PKiS2_PdS3_S3_S3_S3_S3_ddddddddddi.private_seg_size, 0
	.set _Z31applyMaterialPropertiesForElemsPKdS0_S0_PKiS2_PdS3_S3_S3_S3_S3_ddddddddddi.uses_vcc, 1
	.set _Z31applyMaterialPropertiesForElemsPKdS0_S0_PKiS2_PdS3_S3_S3_S3_S3_ddddddddddi.uses_flat_scratch, 0
	.set _Z31applyMaterialPropertiesForElemsPKdS0_S0_PKiS2_PdS3_S3_S3_S3_S3_ddddddddddi.has_dyn_sized_stack, 0
	.set _Z31applyMaterialPropertiesForElemsPKdS0_S0_PKiS2_PdS3_S3_S3_S3_S3_ddddddddddi.has_recursion, 0
	.set _Z31applyMaterialPropertiesForElemsPKdS0_S0_PKiS2_PdS3_S3_S3_S3_S3_ddddddddddi.has_indirect_call, 0
	.section	.AMDGPU.csdata,"",@progbits
; Kernel info:
; codeLenInByte = 2496
; TotalNumSgprs: 36
; NumVgprs: 53
; NumAgprs: 0
; TotalNumVgprs: 53
; ScratchSize: 0
; MemoryBound: 0
; FloatMode: 240
; IeeeMode: 1
; LDSByteSize: 0 bytes/workgroup (compile time only)
; SGPRBlocks: 4
; VGPRBlocks: 6
; NumSGPRsForWavesPerEU: 36
; NumVGPRsForWavesPerEU: 53
; AccumOffset: 56
; Occupancy: 8
; WaveLimiterHint : 0
; COMPUTE_PGM_RSRC2:SCRATCH_EN: 0
; COMPUTE_PGM_RSRC2:USER_SGPR: 2
; COMPUTE_PGM_RSRC2:TRAP_HANDLER: 0
; COMPUTE_PGM_RSRC2:TGID_X_EN: 1
; COMPUTE_PGM_RSRC2:TGID_Y_EN: 0
; COMPUTE_PGM_RSRC2:TGID_Z_EN: 0
; COMPUTE_PGM_RSRC2:TIDIG_COMP_CNT: 0
; COMPUTE_PGM_RSRC3_GFX90A:ACCUM_OFFSET: 13
; COMPUTE_PGM_RSRC3_GFX90A:TG_SPLIT: 0
	.text
	.p2alignl 6, 3212836864
	.fill 256, 4, 3212836864
	.section	.AMDGPU.gpr_maximums,"",@progbits
	.set amdgpu.max_num_vgpr, 0
	.set amdgpu.max_num_agpr, 0
	.set amdgpu.max_num_sgpr, 0
	.text
	.type	__hip_cuid_304704abf5acf080,@object ; @__hip_cuid_304704abf5acf080
	.section	.bss,"aw",@nobits
	.globl	__hip_cuid_304704abf5acf080
__hip_cuid_304704abf5acf080:
	.byte	0                               ; 0x0
	.size	__hip_cuid_304704abf5acf080, 1

	.ident	"AMD clang version 22.0.0git (https://github.com/RadeonOpenCompute/llvm-project roc-7.2.4 26084 f58b06dce1f9c15707c5f808fd002e18c2accf7e)"
	.section	".note.GNU-stack","",@progbits
	.addrsig
	.addrsig_sym __hip_cuid_304704abf5acf080
	.amdgpu_metadata
---
amdhsa.kernels:
  - .agpr_count:     0
    .args:
      - .actual_access:  write_only
        .address_space:  global
        .offset:         0
        .size:           8
        .value_kind:     global_buffer
      - .actual_access:  write_only
        .address_space:  global
        .offset:         8
        .size:           8
        .value_kind:     global_buffer
      - .actual_access:  write_only
        .address_space:  global
        .offset:         16
        .size:           8
        .value_kind:     global_buffer
      - .actual_access:  read_only
        .address_space:  global
        .offset:         24
        .size:           8
        .value_kind:     global_buffer
      - .actual_access:  read_only
        .address_space:  global
        .offset:         32
        .size:           8
        .value_kind:     global_buffer
      - .offset:         40
        .size:           4
        .value_kind:     by_value
      - .offset:         48
        .size:           4
        .value_kind:     hidden_block_count_x
      - .offset:         52
        .size:           4
        .value_kind:     hidden_block_count_y
      - .offset:         56
        .size:           4
        .value_kind:     hidden_block_count_z
      - .offset:         60
        .size:           2
        .value_kind:     hidden_group_size_x
      - .offset:         62
        .size:           2
        .value_kind:     hidden_group_size_y
      - .offset:         64
        .size:           2
        .value_kind:     hidden_group_size_z
      - .offset:         66
        .size:           2
        .value_kind:     hidden_remainder_x
      - .offset:         68
        .size:           2
        .value_kind:     hidden_remainder_y
      - .offset:         70
        .size:           2
        .value_kind:     hidden_remainder_z
      - .offset:         88
        .size:           8
        .value_kind:     hidden_global_offset_x
      - .offset:         96
        .size:           8
        .value_kind:     hidden_global_offset_y
      - .offset:         104
        .size:           8
        .value_kind:     hidden_global_offset_z
      - .offset:         112
        .size:           2
        .value_kind:     hidden_grid_dims
    .group_segment_fixed_size: 0
    .kernarg_segment_align: 8
    .kernarg_segment_size: 304
    .language:       OpenCL C
    .language_version:
      - 2
      - 0
    .max_flat_workgroup_size: 1024
    .name:           _Z8fill_sigPdS_S_PKdS1_i
    .private_segment_fixed_size: 0
    .sgpr_count:     18
    .sgpr_spill_count: 0
    .symbol:         _Z8fill_sigPdS_S_PKdS1_i.kd
    .uniform_work_group_size: 1
    .uses_dynamic_stack: false
    .vgpr_count:     10
    .vgpr_spill_count: 0
    .wavefront_size: 64
  - .agpr_count:     0
    .args:
      - .actual_access:  write_only
        .address_space:  global
        .offset:         0
        .size:           8
        .value_kind:     global_buffer
      - .actual_access:  write_only
        .address_space:  global
        .offset:         8
        .size:           8
        .value_kind:     global_buffer
      - .actual_access:  write_only
        .address_space:  global
        .offset:         16
        .size:           8
        .value_kind:     global_buffer
      - .actual_access:  read_only
        .address_space:  global
        .offset:         24
        .size:           8
        .value_kind:     global_buffer
      - .actual_access:  read_only
        .address_space:  global
        .offset:         32
        .size:           8
        .value_kind:     global_buffer
      - .actual_access:  read_only
        .address_space:  global
        .offset:         40
        .size:           8
        .value_kind:     global_buffer
      - .actual_access:  read_only
        .address_space:  global
        .offset:         48
        .size:           8
        .value_kind:     global_buffer
      - .actual_access:  read_only
        .address_space:  global
        .offset:         56
        .size:           8
        .value_kind:     global_buffer
      - .actual_access:  read_only
        .address_space:  global
        .offset:         64
        .size:           8
        .value_kind:     global_buffer
      - .actual_access:  read_only
        .address_space:  global
        .offset:         72
        .size:           8
        .value_kind:     global_buffer
      - .actual_access:  write_only
        .address_space:  global
        .offset:         80
        .size:           8
        .value_kind:     global_buffer
      - .offset:         88
        .size:           4
        .value_kind:     by_value
      - .offset:         96
        .size:           4
        .value_kind:     hidden_block_count_x
      - .offset:         100
        .size:           4
        .value_kind:     hidden_block_count_y
      - .offset:         104
        .size:           4
        .value_kind:     hidden_block_count_z
      - .offset:         108
        .size:           2
        .value_kind:     hidden_group_size_x
      - .offset:         110
        .size:           2
        .value_kind:     hidden_group_size_y
      - .offset:         112
        .size:           2
        .value_kind:     hidden_group_size_z
      - .offset:         114
        .size:           2
        .value_kind:     hidden_remainder_x
      - .offset:         116
        .size:           2
        .value_kind:     hidden_remainder_y
      - .offset:         118
        .size:           2
        .value_kind:     hidden_remainder_z
      - .offset:         136
        .size:           8
        .value_kind:     hidden_global_offset_x
      - .offset:         144
        .size:           8
        .value_kind:     hidden_global_offset_y
      - .offset:         152
        .size:           8
        .value_kind:     hidden_global_offset_z
      - .offset:         160
        .size:           2
        .value_kind:     hidden_grid_dims
    .group_segment_fixed_size: 0
    .kernarg_segment_align: 8
    .kernarg_segment_size: 352
    .language:       OpenCL C
    .language_version:
      - 2
      - 0
    .max_flat_workgroup_size: 1024
    .name:           _Z15integrateStressPdS_S_PKdS1_S1_PKiS1_S1_S1_S_i
    .private_segment_fixed_size: 0
    .sgpr_count:     26
    .sgpr_spill_count: 0
    .symbol:         _Z15integrateStressPdS_S_PKdS1_S1_PKiS1_S1_S1_S_i.kd
    .uniform_work_group_size: 1
    .uses_dynamic_stack: false
    .vgpr_count:     94
    .vgpr_spill_count: 0
    .wavefront_size: 64
  - .agpr_count:     0
    .args:
      - .actual_access:  read_only
        .address_space:  global
        .offset:         0
        .size:           8
        .value_kind:     global_buffer
      - .actual_access:  read_only
        .address_space:  global
        .offset:         8
        .size:           8
        .value_kind:     global_buffer
      - .actual_access:  read_only
        .address_space:  global
        .offset:         16
        .size:           8
        .value_kind:     global_buffer
      - .actual_access:  write_only
        .address_space:  global
        .offset:         24
        .size:           8
        .value_kind:     global_buffer
      - .actual_access:  write_only
        .address_space:  global
        .offset:         32
        .size:           8
        .value_kind:     global_buffer
      - .actual_access:  write_only
        .address_space:  global
        .offset:         40
        .size:           8
        .value_kind:     global_buffer
      - .actual_access:  read_only
        .address_space:  global
        .offset:         48
        .size:           8
        .value_kind:     global_buffer
      - .actual_access:  read_only
        .address_space:  global
        .offset:         56
        .size:           8
        .value_kind:     global_buffer
      - .offset:         64
        .size:           4
        .value_kind:     by_value
      - .offset:         72
        .size:           4
        .value_kind:     hidden_block_count_x
      - .offset:         76
        .size:           4
        .value_kind:     hidden_block_count_y
      - .offset:         80
        .size:           4
        .value_kind:     hidden_block_count_z
      - .offset:         84
        .size:           2
        .value_kind:     hidden_group_size_x
      - .offset:         86
        .size:           2
        .value_kind:     hidden_group_size_y
      - .offset:         88
        .size:           2
        .value_kind:     hidden_group_size_z
      - .offset:         90
        .size:           2
        .value_kind:     hidden_remainder_x
      - .offset:         92
        .size:           2
        .value_kind:     hidden_remainder_y
      - .offset:         94
        .size:           2
        .value_kind:     hidden_remainder_z
      - .offset:         112
        .size:           8
        .value_kind:     hidden_global_offset_x
      - .offset:         120
        .size:           8
        .value_kind:     hidden_global_offset_y
      - .offset:         128
        .size:           8
        .value_kind:     hidden_global_offset_z
      - .offset:         136
        .size:           2
        .value_kind:     hidden_grid_dims
    .group_segment_fixed_size: 0
    .kernarg_segment_align: 8
    .kernarg_segment_size: 328
    .language:       OpenCL C
    .language_version:
      - 2
      - 0
    .max_flat_workgroup_size: 1024
    .name:           _Z15acc_final_forcePKdS0_S0_PdS1_S1_PKiS3_i
    .private_segment_fixed_size: 0
    .sgpr_count:     19
    .sgpr_spill_count: 0
    .symbol:         _Z15acc_final_forcePKdS0_S0_PdS1_S1_PKiS3_i.kd
    .uniform_work_group_size: 1
    .uses_dynamic_stack: false
    .vgpr_count:     24
    .vgpr_spill_count: 0
    .wavefront_size: 64
  - .agpr_count:     0
    .args:
      - .actual_access:  write_only
        .address_space:  global
        .offset:         0
        .size:           8
        .value_kind:     global_buffer
      - .actual_access:  write_only
        .address_space:  global
        .offset:         8
        .size:           8
        .value_kind:     global_buffer
      - .actual_access:  write_only
        .address_space:  global
        .offset:         16
        .size:           8
        .value_kind:     global_buffer
      - .actual_access:  write_only
        .address_space:  global
        .offset:         24
        .size:           8
        .value_kind:     global_buffer
      - .actual_access:  write_only
        .address_space:  global
        .offset:         32
        .size:           8
        .value_kind:     global_buffer
      - .actual_access:  write_only
        .address_space:  global
        .offset:         40
        .size:           8
        .value_kind:     global_buffer
      - .actual_access:  write_only
        .address_space:  global
        .offset:         48
        .size:           8
        .value_kind:     global_buffer
      - .actual_access:  read_only
        .address_space:  global
        .offset:         56
        .size:           8
        .value_kind:     global_buffer
      - .actual_access:  read_only
        .address_space:  global
        .offset:         64
        .size:           8
        .value_kind:     global_buffer
      - .actual_access:  read_only
        .address_space:  global
        .offset:         72
        .size:           8
        .value_kind:     global_buffer
      - .actual_access:  read_only
        .address_space:  global
        .offset:         80
        .size:           8
        .value_kind:     global_buffer
      - .actual_access:  read_only
        .address_space:  global
        .offset:         88
        .size:           8
        .value_kind:     global_buffer
      - .actual_access:  read_only
        .address_space:  global
        .offset:         96
        .size:           8
        .value_kind:     global_buffer
      - .actual_access:  write_only
        .address_space:  global
        .offset:         104
        .size:           8
        .value_kind:     global_buffer
      - .offset:         112
        .size:           4
        .value_kind:     by_value
      - .offset:         120
        .size:           4
        .value_kind:     hidden_block_count_x
      - .offset:         124
        .size:           4
        .value_kind:     hidden_block_count_y
      - .offset:         128
        .size:           4
        .value_kind:     hidden_block_count_z
      - .offset:         132
        .size:           2
        .value_kind:     hidden_group_size_x
      - .offset:         134
        .size:           2
        .value_kind:     hidden_group_size_y
      - .offset:         136
        .size:           2
        .value_kind:     hidden_group_size_z
      - .offset:         138
        .size:           2
        .value_kind:     hidden_remainder_x
      - .offset:         140
        .size:           2
        .value_kind:     hidden_remainder_y
      - .offset:         142
        .size:           2
        .value_kind:     hidden_remainder_z
      - .offset:         160
        .size:           8
        .value_kind:     hidden_global_offset_x
      - .offset:         168
        .size:           8
        .value_kind:     hidden_global_offset_y
      - .offset:         176
        .size:           8
        .value_kind:     hidden_global_offset_z
      - .offset:         184
        .size:           2
        .value_kind:     hidden_grid_dims
    .group_segment_fixed_size: 0
    .kernarg_segment_align: 8
    .kernarg_segment_size: 376
    .language:       OpenCL C
    .language_version:
      - 2
      - 0
    .max_flat_workgroup_size: 1024
    .name:           _Z3hgcPdS_S_S_S_S_S_PKdS1_S1_PKiS1_S1_Pii
    .private_segment_fixed_size: 92
    .sgpr_count:     26
    .sgpr_spill_count: 0
    .symbol:         _Z3hgcPdS_S_S_S_S_S_PKdS1_S1_PKiS1_S1_Pii.kd
    .uniform_work_group_size: 1
    .uses_dynamic_stack: false
    .vgpr_count:     128
    .vgpr_spill_count: 22
    .wavefront_size: 64
  - .agpr_count:     0
    .args:
      - .actual_access:  read_only
        .address_space:  global
        .offset:         0
        .size:           8
        .value_kind:     global_buffer
      - .actual_access:  read_only
        .address_space:  global
        .offset:         8
        .size:           8
        .value_kind:     global_buffer
      - .actual_access:  read_only
        .address_space:  global
        .offset:         16
        .size:           8
        .value_kind:     global_buffer
      - .actual_access:  read_only
        .address_space:  global
        .offset:         24
        .size:           8
        .value_kind:     global_buffer
      - .actual_access:  read_only
        .address_space:  global
        .offset:         32
        .size:           8
        .value_kind:     global_buffer
      - .actual_access:  read_only
        .address_space:  global
        .offset:         40
        .size:           8
        .value_kind:     global_buffer
      - .actual_access:  read_only
        .address_space:  global
        .offset:         48
        .size:           8
        .value_kind:     global_buffer
      - .actual_access:  read_only
        .address_space:  global
        .offset:         56
        .size:           8
        .value_kind:     global_buffer
      - .actual_access:  read_only
        .address_space:  global
        .offset:         64
        .size:           8
        .value_kind:     global_buffer
      - .actual_access:  read_only
        .address_space:  global
        .offset:         72
        .size:           8
        .value_kind:     global_buffer
      - .actual_access:  read_only
        .address_space:  global
        .offset:         80
        .size:           8
        .value_kind:     global_buffer
      - .actual_access:  read_only
        .address_space:  global
        .offset:         88
        .size:           8
        .value_kind:     global_buffer
      - .actual_access:  read_only
        .address_space:  global
        .offset:         96
        .size:           8
        .value_kind:     global_buffer
      - .actual_access:  read_only
        .address_space:  global
        .offset:         104
        .size:           8
        .value_kind:     global_buffer
      - .actual_access:  write_only
        .address_space:  global
        .offset:         112
        .size:           8
        .value_kind:     global_buffer
      - .actual_access:  write_only
        .address_space:  global
        .offset:         120
        .size:           8
        .value_kind:     global_buffer
      - .actual_access:  write_only
        .address_space:  global
        .offset:         128
        .size:           8
        .value_kind:     global_buffer
      - .offset:         136
        .size:           8
        .value_kind:     by_value
      - .offset:         144
        .size:           4
        .value_kind:     by_value
      - .offset:         152
        .size:           4
        .value_kind:     hidden_block_count_x
      - .offset:         156
        .size:           4
        .value_kind:     hidden_block_count_y
      - .offset:         160
        .size:           4
        .value_kind:     hidden_block_count_z
      - .offset:         164
        .size:           2
        .value_kind:     hidden_group_size_x
      - .offset:         166
        .size:           2
        .value_kind:     hidden_group_size_y
      - .offset:         168
        .size:           2
        .value_kind:     hidden_group_size_z
      - .offset:         170
        .size:           2
        .value_kind:     hidden_remainder_x
      - .offset:         172
        .size:           2
        .value_kind:     hidden_remainder_y
      - .offset:         174
        .size:           2
        .value_kind:     hidden_remainder_z
      - .offset:         192
        .size:           8
        .value_kind:     hidden_global_offset_x
      - .offset:         200
        .size:           8
        .value_kind:     hidden_global_offset_y
      - .offset:         208
        .size:           8
        .value_kind:     hidden_global_offset_z
      - .offset:         216
        .size:           2
        .value_kind:     hidden_grid_dims
    .group_segment_fixed_size: 0
    .kernarg_segment_align: 8
    .kernarg_segment_size: 408
    .language:       OpenCL C
    .language_version:
      - 2
      - 0
    .max_flat_workgroup_size: 1024
    .name:           _Z2fbPKdS0_S0_S0_S0_S0_S0_S0_S0_S0_S0_S0_PKiS0_PdS3_S3_di
    .private_segment_fixed_size: 156
    .sgpr_count:     98
    .sgpr_spill_count: 0
    .symbol:         _Z2fbPKdS0_S0_S0_S0_S0_S0_S0_S0_S0_S0_S0_PKiS0_PdS3_S3_di.kd
    .uniform_work_group_size: 1
    .uses_dynamic_stack: false
    .vgpr_count:     128
    .vgpr_spill_count: 38
    .wavefront_size: 64
  - .agpr_count:     0
    .args:
      - .actual_access:  read_only
        .address_space:  global
        .offset:         0
        .size:           8
        .value_kind:     global_buffer
      - .actual_access:  read_only
        .address_space:  global
        .offset:         8
        .size:           8
        .value_kind:     global_buffer
      - .actual_access:  read_only
        .address_space:  global
        .offset:         16
        .size:           8
        .value_kind:     global_buffer
      - .actual_access:  write_only
        .address_space:  global
        .offset:         24
        .size:           8
        .value_kind:     global_buffer
      - .actual_access:  write_only
        .address_space:  global
        .offset:         32
        .size:           8
        .value_kind:     global_buffer
      - .actual_access:  write_only
        .address_space:  global
        .offset:         40
        .size:           8
        .value_kind:     global_buffer
      - .actual_access:  read_only
        .address_space:  global
        .offset:         48
        .size:           8
        .value_kind:     global_buffer
      - .actual_access:  read_only
        .address_space:  global
        .offset:         56
        .size:           8
        .value_kind:     global_buffer
      - .offset:         64
        .size:           4
        .value_kind:     by_value
      - .offset:         72
        .size:           4
        .value_kind:     hidden_block_count_x
      - .offset:         76
        .size:           4
        .value_kind:     hidden_block_count_y
      - .offset:         80
        .size:           4
        .value_kind:     hidden_block_count_z
      - .offset:         84
        .size:           2
        .value_kind:     hidden_group_size_x
      - .offset:         86
        .size:           2
        .value_kind:     hidden_group_size_y
      - .offset:         88
        .size:           2
        .value_kind:     hidden_group_size_z
      - .offset:         90
        .size:           2
        .value_kind:     hidden_remainder_x
      - .offset:         92
        .size:           2
        .value_kind:     hidden_remainder_y
      - .offset:         94
        .size:           2
        .value_kind:     hidden_remainder_z
      - .offset:         112
        .size:           8
        .value_kind:     hidden_global_offset_x
      - .offset:         120
        .size:           8
        .value_kind:     hidden_global_offset_y
      - .offset:         128
        .size:           8
        .value_kind:     hidden_global_offset_z
      - .offset:         136
        .size:           2
        .value_kind:     hidden_grid_dims
    .group_segment_fixed_size: 0
    .kernarg_segment_align: 8
    .kernarg_segment_size: 328
    .language:       OpenCL C
    .language_version:
      - 2
      - 0
    .max_flat_workgroup_size: 1024
    .name:           _Z19collect_final_forcePKdS0_S0_PdS1_S1_PKiS3_i
    .private_segment_fixed_size: 0
    .sgpr_count:     19
    .sgpr_spill_count: 0
    .symbol:         _Z19collect_final_forcePKdS0_S0_PdS1_S1_PKiS3_i.kd
    .uniform_work_group_size: 1
    .uses_dynamic_stack: false
    .vgpr_count:     24
    .vgpr_spill_count: 0
    .wavefront_size: 64
  - .agpr_count:     0
    .args:
      - .actual_access:  read_only
        .address_space:  global
        .offset:         0
        .size:           8
        .value_kind:     global_buffer
      - .actual_access:  read_only
        .address_space:  global
        .offset:         8
        .size:           8
        .value_kind:     global_buffer
      - .actual_access:  read_only
        .address_space:  global
        .offset:         16
        .size:           8
        .value_kind:     global_buffer
      - .actual_access:  read_only
        .address_space:  global
        .offset:         24
        .size:           8
        .value_kind:     global_buffer
      - .actual_access:  write_only
        .address_space:  global
        .offset:         32
        .size:           8
        .value_kind:     global_buffer
      - .actual_access:  write_only
        .address_space:  global
        .offset:         40
        .size:           8
        .value_kind:     global_buffer
      - .actual_access:  write_only
        .address_space:  global
        .offset:         48
        .size:           8
        .value_kind:     global_buffer
      - .offset:         56
        .size:           4
        .value_kind:     by_value
      - .offset:         64
        .size:           4
        .value_kind:     hidden_block_count_x
      - .offset:         68
        .size:           4
        .value_kind:     hidden_block_count_y
      - .offset:         72
        .size:           4
        .value_kind:     hidden_block_count_z
      - .offset:         76
        .size:           2
        .value_kind:     hidden_group_size_x
      - .offset:         78
        .size:           2
        .value_kind:     hidden_group_size_y
      - .offset:         80
        .size:           2
        .value_kind:     hidden_group_size_z
      - .offset:         82
        .size:           2
        .value_kind:     hidden_remainder_x
      - .offset:         84
        .size:           2
        .value_kind:     hidden_remainder_y
      - .offset:         86
        .size:           2
        .value_kind:     hidden_remainder_z
      - .offset:         104
        .size:           8
        .value_kind:     hidden_global_offset_x
      - .offset:         112
        .size:           8
        .value_kind:     hidden_global_offset_y
      - .offset:         120
        .size:           8
        .value_kind:     hidden_global_offset_z
      - .offset:         128
        .size:           2
        .value_kind:     hidden_grid_dims
    .group_segment_fixed_size: 0
    .kernarg_segment_align: 8
    .kernarg_segment_size: 320
    .language:       OpenCL C
    .language_version:
      - 2
      - 0
    .max_flat_workgroup_size: 1024
    .name:           _Z19accelerationForNodePKdS0_S0_S0_PdS1_S1_i
    .private_segment_fixed_size: 0
    .sgpr_count:     18
    .sgpr_spill_count: 0
    .symbol:         _Z19accelerationForNodePKdS0_S0_S0_PdS1_S1_i.kd
    .uniform_work_group_size: 1
    .uses_dynamic_stack: false
    .vgpr_count:     22
    .vgpr_spill_count: 0
    .wavefront_size: 64
  - .agpr_count:     0
    .args:
      - .actual_access:  read_only
        .address_space:  global
        .offset:         0
        .size:           8
        .value_kind:     global_buffer
      - .actual_access:  read_only
        .address_space:  global
        .offset:         8
        .size:           8
        .value_kind:     global_buffer
      - .actual_access:  read_only
        .address_space:  global
        .offset:         16
        .size:           8
        .value_kind:     global_buffer
      - .actual_access:  write_only
        .address_space:  global
        .offset:         24
        .size:           8
        .value_kind:     global_buffer
      - .actual_access:  write_only
        .address_space:  global
        .offset:         32
        .size:           8
        .value_kind:     global_buffer
      - .actual_access:  write_only
        .address_space:  global
        .offset:         40
        .size:           8
        .value_kind:     global_buffer
      - .offset:         48
        .size:           4
        .value_kind:     by_value
      - .offset:         52
        .size:           4
        .value_kind:     by_value
      - .offset:         56
        .size:           4
        .value_kind:     by_value
      - .offset:         60
        .size:           4
        .value_kind:     by_value
      - .offset:         64
        .size:           4
        .value_kind:     hidden_block_count_x
      - .offset:         68
        .size:           4
        .value_kind:     hidden_block_count_y
      - .offset:         72
        .size:           4
        .value_kind:     hidden_block_count_z
      - .offset:         76
        .size:           2
        .value_kind:     hidden_group_size_x
      - .offset:         78
        .size:           2
        .value_kind:     hidden_group_size_y
      - .offset:         80
        .size:           2
        .value_kind:     hidden_group_size_z
      - .offset:         82
        .size:           2
        .value_kind:     hidden_remainder_x
      - .offset:         84
        .size:           2
        .value_kind:     hidden_remainder_y
      - .offset:         86
        .size:           2
        .value_kind:     hidden_remainder_z
      - .offset:         104
        .size:           8
        .value_kind:     hidden_global_offset_x
      - .offset:         112
        .size:           8
        .value_kind:     hidden_global_offset_y
      - .offset:         120
        .size:           8
        .value_kind:     hidden_global_offset_z
      - .offset:         128
        .size:           2
        .value_kind:     hidden_grid_dims
    .group_segment_fixed_size: 0
    .kernarg_segment_align: 8
    .kernarg_segment_size: 320
    .language:       OpenCL C
    .language_version:
      - 2
      - 0
    .max_flat_workgroup_size: 1024
    .name:           _Z43applyAccelerationBoundaryConditionsForNodesPKiS0_S0_PdS1_S1_iiii
    .private_segment_fixed_size: 0
    .sgpr_count:     16
    .sgpr_spill_count: 0
    .symbol:         _Z43applyAccelerationBoundaryConditionsForNodesPKiS0_S0_PdS1_S1_iiii.kd
    .uniform_work_group_size: 1
    .uses_dynamic_stack: false
    .vgpr_count:     6
    .vgpr_spill_count: 0
    .wavefront_size: 64
  - .agpr_count:     0
    .args:
      - .address_space:  global
        .offset:         0
        .size:           8
        .value_kind:     global_buffer
      - .address_space:  global
        .offset:         8
        .size:           8
        .value_kind:     global_buffer
      - .address_space:  global
        .offset:         16
        .size:           8
        .value_kind:     global_buffer
      - .actual_access:  read_only
        .address_space:  global
        .offset:         24
        .size:           8
        .value_kind:     global_buffer
      - .actual_access:  read_only
        .address_space:  global
        .offset:         32
        .size:           8
        .value_kind:     global_buffer
      - .actual_access:  read_only
        .address_space:  global
        .offset:         40
        .size:           8
        .value_kind:     global_buffer
      - .offset:         48
        .size:           8
        .value_kind:     by_value
      - .offset:         56
        .size:           8
        .value_kind:     by_value
      - .offset:         64
        .size:           4
        .value_kind:     by_value
      - .offset:         72
        .size:           4
        .value_kind:     hidden_block_count_x
      - .offset:         76
        .size:           4
        .value_kind:     hidden_block_count_y
      - .offset:         80
        .size:           4
        .value_kind:     hidden_block_count_z
      - .offset:         84
        .size:           2
        .value_kind:     hidden_group_size_x
      - .offset:         86
        .size:           2
        .value_kind:     hidden_group_size_y
      - .offset:         88
        .size:           2
        .value_kind:     hidden_group_size_z
      - .offset:         90
        .size:           2
        .value_kind:     hidden_remainder_x
      - .offset:         92
        .size:           2
        .value_kind:     hidden_remainder_y
      - .offset:         94
        .size:           2
        .value_kind:     hidden_remainder_z
      - .offset:         112
        .size:           8
        .value_kind:     hidden_global_offset_x
      - .offset:         120
        .size:           8
        .value_kind:     hidden_global_offset_y
      - .offset:         128
        .size:           8
        .value_kind:     hidden_global_offset_z
      - .offset:         136
        .size:           2
        .value_kind:     hidden_grid_dims
    .group_segment_fixed_size: 0
    .kernarg_segment_align: 8
    .kernarg_segment_size: 328
    .language:       OpenCL C
    .language_version:
      - 2
      - 0
    .max_flat_workgroup_size: 1024
    .name:           _Z20calcVelocityForNodesPdS_S_PKdS1_S1_ddi
    .private_segment_fixed_size: 0
    .sgpr_count:     26
    .sgpr_spill_count: 0
    .symbol:         _Z20calcVelocityForNodesPdS_S_PKdS1_S1_ddi.kd
    .uniform_work_group_size: 1
    .uses_dynamic_stack: false
    .vgpr_count:     18
    .vgpr_spill_count: 0
    .wavefront_size: 64
  - .agpr_count:     0
    .args:
      - .address_space:  global
        .offset:         0
        .size:           8
        .value_kind:     global_buffer
      - .address_space:  global
        .offset:         8
        .size:           8
        .value_kind:     global_buffer
      - .address_space:  global
        .offset:         16
        .size:           8
        .value_kind:     global_buffer
      - .actual_access:  read_only
        .address_space:  global
        .offset:         24
        .size:           8
        .value_kind:     global_buffer
      - .actual_access:  read_only
        .address_space:  global
        .offset:         32
        .size:           8
        .value_kind:     global_buffer
      - .actual_access:  read_only
        .address_space:  global
        .offset:         40
        .size:           8
        .value_kind:     global_buffer
      - .offset:         48
        .size:           8
        .value_kind:     by_value
      - .offset:         56
        .size:           4
        .value_kind:     by_value
      - .offset:         64
        .size:           4
        .value_kind:     hidden_block_count_x
      - .offset:         68
        .size:           4
        .value_kind:     hidden_block_count_y
      - .offset:         72
        .size:           4
        .value_kind:     hidden_block_count_z
      - .offset:         76
        .size:           2
        .value_kind:     hidden_group_size_x
      - .offset:         78
        .size:           2
        .value_kind:     hidden_group_size_y
      - .offset:         80
        .size:           2
        .value_kind:     hidden_group_size_z
      - .offset:         82
        .size:           2
        .value_kind:     hidden_remainder_x
      - .offset:         84
        .size:           2
        .value_kind:     hidden_remainder_y
      - .offset:         86
        .size:           2
        .value_kind:     hidden_remainder_z
      - .offset:         104
        .size:           8
        .value_kind:     hidden_global_offset_x
      - .offset:         112
        .size:           8
        .value_kind:     hidden_global_offset_y
      - .offset:         120
        .size:           8
        .value_kind:     hidden_global_offset_z
      - .offset:         128
        .size:           2
        .value_kind:     hidden_grid_dims
    .group_segment_fixed_size: 0
    .kernarg_segment_align: 8
    .kernarg_segment_size: 320
    .language:       OpenCL C
    .language_version:
      - 2
      - 0
    .max_flat_workgroup_size: 1024
    .name:           _Z20calcPositionForNodesPdS_S_PKdS1_S1_di
    .private_segment_fixed_size: 0
    .sgpr_count:     22
    .sgpr_spill_count: 0
    .symbol:         _Z20calcPositionForNodesPdS_S_PKdS1_S1_di.kd
    .uniform_work_group_size: 1
    .uses_dynamic_stack: false
    .vgpr_count:     18
    .vgpr_spill_count: 0
    .wavefront_size: 64
  - .agpr_count:     0
    .args:
      - .actual_access:  read_only
        .address_space:  global
        .offset:         0
        .size:           8
        .value_kind:     global_buffer
      - .actual_access:  read_only
        .address_space:  global
        .offset:         8
        .size:           8
        .value_kind:     global_buffer
      - .actual_access:  read_only
        .address_space:  global
        .offset:         16
        .size:           8
        .value_kind:     global_buffer
      - .actual_access:  read_only
        .address_space:  global
        .offset:         24
        .size:           8
        .value_kind:     global_buffer
      - .actual_access:  read_only
        .address_space:  global
        .offset:         32
        .size:           8
        .value_kind:     global_buffer
      - .actual_access:  read_only
        .address_space:  global
        .offset:         40
        .size:           8
        .value_kind:     global_buffer
      - .actual_access:  read_only
        .address_space:  global
        .offset:         48
        .size:           8
        .value_kind:     global_buffer
      - .actual_access:  read_only
        .address_space:  global
        .offset:         56
        .size:           8
        .value_kind:     global_buffer
      - .actual_access:  read_only
        .address_space:  global
        .offset:         64
        .size:           8
        .value_kind:     global_buffer
      - .actual_access:  write_only
        .address_space:  global
        .offset:         72
        .size:           8
        .value_kind:     global_buffer
      - .actual_access:  write_only
        .address_space:  global
        .offset:         80
        .size:           8
        .value_kind:     global_buffer
      - .actual_access:  write_only
        .address_space:  global
        .offset:         88
        .size:           8
        .value_kind:     global_buffer
      - .actual_access:  write_only
        .address_space:  global
        .offset:         96
        .size:           8
        .value_kind:     global_buffer
      - .actual_access:  write_only
        .address_space:  global
        .offset:         104
        .size:           8
        .value_kind:     global_buffer
      - .actual_access:  write_only
        .address_space:  global
        .offset:         112
        .size:           8
        .value_kind:     global_buffer
      - .offset:         120
        .size:           8
        .value_kind:     by_value
      - .offset:         128
        .size:           4
        .value_kind:     by_value
      - .offset:         136
        .size:           4
        .value_kind:     hidden_block_count_x
      - .offset:         140
        .size:           4
        .value_kind:     hidden_block_count_y
      - .offset:         144
        .size:           4
        .value_kind:     hidden_block_count_z
      - .offset:         148
        .size:           2
        .value_kind:     hidden_group_size_x
      - .offset:         150
        .size:           2
        .value_kind:     hidden_group_size_y
      - .offset:         152
        .size:           2
        .value_kind:     hidden_group_size_z
      - .offset:         154
        .size:           2
        .value_kind:     hidden_remainder_x
      - .offset:         156
        .size:           2
        .value_kind:     hidden_remainder_y
      - .offset:         158
        .size:           2
        .value_kind:     hidden_remainder_z
      - .offset:         176
        .size:           8
        .value_kind:     hidden_global_offset_x
      - .offset:         184
        .size:           8
        .value_kind:     hidden_global_offset_y
      - .offset:         192
        .size:           8
        .value_kind:     hidden_global_offset_z
      - .offset:         200
        .size:           2
        .value_kind:     hidden_grid_dims
    .group_segment_fixed_size: 0
    .kernarg_segment_align: 8
    .kernarg_segment_size: 392
    .language:       OpenCL C
    .language_version:
      - 2
      - 0
    .max_flat_workgroup_size: 1024
    .name:           _Z22calcKinematicsForElemsPKdS0_S0_S0_S0_S0_PKiS0_S0_PdS3_S3_S3_S3_S3_di
    .private_segment_fixed_size: 0
    .sgpr_count:     26
    .sgpr_spill_count: 0
    .symbol:         _Z22calcKinematicsForElemsPKdS0_S0_S0_S0_S0_PKiS0_S0_PdS3_S3_S3_S3_S3_di.kd
    .uniform_work_group_size: 1
    .uses_dynamic_stack: false
    .vgpr_count:     122
    .vgpr_spill_count: 0
    .wavefront_size: 64
  - .agpr_count:     0
    .args:
      - .address_space:  global
        .offset:         0
        .size:           8
        .value_kind:     global_buffer
      - .address_space:  global
        .offset:         8
        .size:           8
        .value_kind:     global_buffer
      - .address_space:  global
        .offset:         16
        .size:           8
        .value_kind:     global_buffer
      - .actual_access:  read_only
        .address_space:  global
        .offset:         24
        .size:           8
        .value_kind:     global_buffer
      - .actual_access:  write_only
        .address_space:  global
        .offset:         32
        .size:           8
        .value_kind:     global_buffer
      - .actual_access:  write_only
        .address_space:  global
        .offset:         40
        .size:           8
        .value_kind:     global_buffer
      - .offset:         48
        .size:           4
        .value_kind:     by_value
      - .offset:         56
        .size:           4
        .value_kind:     hidden_block_count_x
      - .offset:         60
        .size:           4
        .value_kind:     hidden_block_count_y
      - .offset:         64
        .size:           4
        .value_kind:     hidden_block_count_z
      - .offset:         68
        .size:           2
        .value_kind:     hidden_group_size_x
      - .offset:         70
        .size:           2
        .value_kind:     hidden_group_size_y
      - .offset:         72
        .size:           2
        .value_kind:     hidden_group_size_z
      - .offset:         74
        .size:           2
        .value_kind:     hidden_remainder_x
      - .offset:         76
        .size:           2
        .value_kind:     hidden_remainder_y
      - .offset:         78
        .size:           2
        .value_kind:     hidden_remainder_z
      - .offset:         96
        .size:           8
        .value_kind:     hidden_global_offset_x
      - .offset:         104
        .size:           8
        .value_kind:     hidden_global_offset_y
      - .offset:         112
        .size:           8
        .value_kind:     hidden_global_offset_z
      - .offset:         120
        .size:           2
        .value_kind:     hidden_grid_dims
    .group_segment_fixed_size: 0
    .kernarg_segment_align: 8
    .kernarg_segment_size: 312
    .language:       OpenCL C
    .language_version:
      - 2
      - 0
    .max_flat_workgroup_size: 1024
    .name:           _Z15calcStrainRatesPdS_S_PKdS_Pii
    .private_segment_fixed_size: 0
    .sgpr_count:     18
    .sgpr_spill_count: 0
    .symbol:         _Z15calcStrainRatesPdS_S_PKdS_Pii.kd
    .uniform_work_group_size: 1
    .uses_dynamic_stack: false
    .vgpr_count:     26
    .vgpr_spill_count: 0
    .wavefront_size: 64
  - .agpr_count:     0
    .args:
      - .actual_access:  read_only
        .address_space:  global
        .offset:         0
        .size:           8
        .value_kind:     global_buffer
      - .actual_access:  read_only
        .address_space:  global
        .offset:         8
        .size:           8
        .value_kind:     global_buffer
      - .actual_access:  read_only
        .address_space:  global
        .offset:         16
        .size:           8
        .value_kind:     global_buffer
      - .actual_access:  read_only
        .address_space:  global
        .offset:         24
        .size:           8
        .value_kind:     global_buffer
      - .actual_access:  read_only
        .address_space:  global
        .offset:         32
        .size:           8
        .value_kind:     global_buffer
      - .actual_access:  read_only
        .address_space:  global
        .offset:         40
        .size:           8
        .value_kind:     global_buffer
      - .actual_access:  read_only
        .address_space:  global
        .offset:         48
        .size:           8
        .value_kind:     global_buffer
      - .actual_access:  read_only
        .address_space:  global
        .offset:         56
        .size:           8
        .value_kind:     global_buffer
      - .actual_access:  write_only
        .address_space:  global
        .offset:         64
        .size:           8
        .value_kind:     global_buffer
      - .actual_access:  write_only
        .address_space:  global
        .offset:         72
        .size:           8
        .value_kind:     global_buffer
      - .actual_access:  write_only
        .address_space:  global
        .offset:         80
        .size:           8
        .value_kind:     global_buffer
      - .actual_access:  write_only
        .address_space:  global
        .offset:         88
        .size:           8
        .value_kind:     global_buffer
      - .actual_access:  write_only
        .address_space:  global
        .offset:         96
        .size:           8
        .value_kind:     global_buffer
      - .actual_access:  write_only
        .address_space:  global
        .offset:         104
        .size:           8
        .value_kind:     global_buffer
      - .actual_access:  read_only
        .address_space:  global
        .offset:         112
        .size:           8
        .value_kind:     global_buffer
      - .offset:         120
        .size:           4
        .value_kind:     by_value
      - .offset:         128
        .size:           4
        .value_kind:     hidden_block_count_x
      - .offset:         132
        .size:           4
        .value_kind:     hidden_block_count_y
      - .offset:         136
        .size:           4
        .value_kind:     hidden_block_count_z
      - .offset:         140
        .size:           2
        .value_kind:     hidden_group_size_x
      - .offset:         142
        .size:           2
        .value_kind:     hidden_group_size_y
      - .offset:         144
        .size:           2
        .value_kind:     hidden_group_size_z
      - .offset:         146
        .size:           2
        .value_kind:     hidden_remainder_x
      - .offset:         148
        .size:           2
        .value_kind:     hidden_remainder_y
      - .offset:         150
        .size:           2
        .value_kind:     hidden_remainder_z
      - .offset:         168
        .size:           8
        .value_kind:     hidden_global_offset_x
      - .offset:         176
        .size:           8
        .value_kind:     hidden_global_offset_y
      - .offset:         184
        .size:           8
        .value_kind:     hidden_global_offset_z
      - .offset:         192
        .size:           2
        .value_kind:     hidden_grid_dims
    .group_segment_fixed_size: 0
    .kernarg_segment_align: 8
    .kernarg_segment_size: 384
    .language:       OpenCL C
    .language_version:
      - 2
      - 0
    .max_flat_workgroup_size: 1024
    .name:           _Z31calcMonotonicQGradientsForElemsPKdS0_S0_S0_S0_S0_PKiS0_PdS3_S3_S3_S3_S3_S0_i
    .private_segment_fixed_size: 12
    .sgpr_count:     34
    .sgpr_spill_count: 0
    .symbol:         _Z31calcMonotonicQGradientsForElemsPKdS0_S0_S0_S0_S0_PKiS0_PdS3_S3_S3_S3_S3_S0_i.kd
    .uniform_work_group_size: 1
    .uses_dynamic_stack: false
    .vgpr_count:     128
    .vgpr_spill_count: 2
    .wavefront_size: 64
  - .agpr_count:     0
    .args:
      - .actual_access:  read_only
        .address_space:  global
        .offset:         0
        .size:           8
        .value_kind:     global_buffer
      - .actual_access:  read_only
        .address_space:  global
        .offset:         8
        .size:           8
        .value_kind:     global_buffer
      - .actual_access:  write_only
        .address_space:  global
        .offset:         16
        .size:           8
        .value_kind:     global_buffer
      - .actual_access:  write_only
        .address_space:  global
        .offset:         24
        .size:           8
        .value_kind:     global_buffer
      - .actual_access:  read_only
        .address_space:  global
        .offset:         32
        .size:           8
        .value_kind:     global_buffer
      - .actual_access:  read_only
        .address_space:  global
        .offset:         40
        .size:           8
        .value_kind:     global_buffer
      - .actual_access:  read_only
        .address_space:  global
        .offset:         48
        .size:           8
        .value_kind:     global_buffer
      - .actual_access:  read_only
        .address_space:  global
        .offset:         56
        .size:           8
        .value_kind:     global_buffer
      - .actual_access:  read_only
        .address_space:  global
        .offset:         64
        .size:           8
        .value_kind:     global_buffer
      - .actual_access:  read_only
        .address_space:  global
        .offset:         72
        .size:           8
        .value_kind:     global_buffer
      - .actual_access:  read_only
        .address_space:  global
        .offset:         80
        .size:           8
        .value_kind:     global_buffer
      - .actual_access:  read_only
        .address_space:  global
        .offset:         88
        .size:           8
        .value_kind:     global_buffer
      - .actual_access:  read_only
        .address_space:  global
        .offset:         96
        .size:           8
        .value_kind:     global_buffer
      - .actual_access:  read_only
        .address_space:  global
        .offset:         104
        .size:           8
        .value_kind:     global_buffer
      - .actual_access:  read_only
        .address_space:  global
        .offset:         112
        .size:           8
        .value_kind:     global_buffer
      - .actual_access:  read_only
        .address_space:  global
        .offset:         120
        .size:           8
        .value_kind:     global_buffer
      - .actual_access:  read_only
        .address_space:  global
        .offset:         128
        .size:           8
        .value_kind:     global_buffer
      - .actual_access:  read_only
        .address_space:  global
        .offset:         136
        .size:           8
        .value_kind:     global_buffer
      - .actual_access:  read_only
        .address_space:  global
        .offset:         144
        .size:           8
        .value_kind:     global_buffer
      - .offset:         152
        .size:           8
        .value_kind:     by_value
      - .offset:         160
        .size:           8
        .value_kind:     by_value
      - .offset:         168
        .size:           8
        .value_kind:     by_value
      - .offset:         176
        .size:           8
        .value_kind:     by_value
      - .offset:         184
        .size:           4
        .value_kind:     by_value
      - .offset:         192
        .size:           4
        .value_kind:     hidden_block_count_x
      - .offset:         196
        .size:           4
        .value_kind:     hidden_block_count_y
      - .offset:         200
        .size:           4
        .value_kind:     hidden_block_count_z
      - .offset:         204
        .size:           2
        .value_kind:     hidden_group_size_x
      - .offset:         206
        .size:           2
        .value_kind:     hidden_group_size_y
      - .offset:         208
        .size:           2
        .value_kind:     hidden_group_size_z
      - .offset:         210
        .size:           2
        .value_kind:     hidden_remainder_x
      - .offset:         212
        .size:           2
        .value_kind:     hidden_remainder_y
      - .offset:         214
        .size:           2
        .value_kind:     hidden_remainder_z
      - .offset:         232
        .size:           8
        .value_kind:     hidden_global_offset_x
      - .offset:         240
        .size:           8
        .value_kind:     hidden_global_offset_y
      - .offset:         248
        .size:           8
        .value_kind:     hidden_global_offset_z
      - .offset:         256
        .size:           2
        .value_kind:     hidden_grid_dims
    .group_segment_fixed_size: 0
    .kernarg_segment_align: 8
    .kernarg_segment_size: 448
    .language:       OpenCL C
    .language_version:
      - 2
      - 0
    .max_flat_workgroup_size: 1024
    .name:           _Z22calcMonotonicQForElemsPKiPKdPdS3_S2_S2_S2_S2_S2_S2_S2_S2_S0_S0_S0_S0_S0_S0_S2_ddddi
    .private_segment_fixed_size: 0
    .sgpr_count:     56
    .sgpr_spill_count: 0
    .symbol:         _Z22calcMonotonicQForElemsPKiPKdPdS3_S2_S2_S2_S2_S2_S2_S2_S2_S0_S0_S0_S0_S0_S0_S2_ddddi.kd
    .uniform_work_group_size: 1
    .uses_dynamic_stack: false
    .vgpr_count:     46
    .vgpr_spill_count: 0
    .wavefront_size: 64
  - .agpr_count:     0
    .args:
      - .actual_access:  read_only
        .address_space:  global
        .offset:         0
        .size:           8
        .value_kind:     global_buffer
      - .actual_access:  read_only
        .address_space:  global
        .offset:         8
        .size:           8
        .value_kind:     global_buffer
      - .actual_access:  read_only
        .address_space:  global
        .offset:         16
        .size:           8
        .value_kind:     global_buffer
      - .actual_access:  read_only
        .address_space:  global
        .offset:         24
        .size:           8
        .value_kind:     global_buffer
      - .actual_access:  read_only
        .address_space:  global
        .offset:         32
        .size:           8
        .value_kind:     global_buffer
      - .address_space:  global
        .offset:         40
        .size:           8
        .value_kind:     global_buffer
      - .address_space:  global
        .offset:         48
        .size:           8
        .value_kind:     global_buffer
      - .address_space:  global
        .offset:         56
        .size:           8
        .value_kind:     global_buffer
      - .actual_access:  write_only
        .address_space:  global
        .offset:         64
        .size:           8
        .value_kind:     global_buffer
      - .actual_access:  write_only
        .address_space:  global
        .offset:         72
        .size:           8
        .value_kind:     global_buffer
      - .address_space:  global
        .offset:         80
        .size:           8
        .value_kind:     global_buffer
      - .offset:         88
        .size:           8
        .value_kind:     by_value
      - .offset:         96
        .size:           8
        .value_kind:     by_value
      - .offset:         104
        .size:           8
        .value_kind:     by_value
      - .offset:         112
        .size:           8
        .value_kind:     by_value
      - .offset:         120
        .size:           8
        .value_kind:     by_value
      - .offset:         128
        .size:           8
        .value_kind:     by_value
      - .offset:         136
        .size:           8
        .value_kind:     by_value
      - .offset:         144
        .size:           8
        .value_kind:     by_value
      - .offset:         152
        .size:           8
        .value_kind:     by_value
      - .offset:         160
        .size:           8
        .value_kind:     by_value
      - .offset:         168
        .size:           4
        .value_kind:     by_value
      - .offset:         176
        .size:           4
        .value_kind:     hidden_block_count_x
      - .offset:         180
        .size:           4
        .value_kind:     hidden_block_count_y
      - .offset:         184
        .size:           4
        .value_kind:     hidden_block_count_z
      - .offset:         188
        .size:           2
        .value_kind:     hidden_group_size_x
      - .offset:         190
        .size:           2
        .value_kind:     hidden_group_size_y
      - .offset:         192
        .size:           2
        .value_kind:     hidden_group_size_z
      - .offset:         194
        .size:           2
        .value_kind:     hidden_remainder_x
      - .offset:         196
        .size:           2
        .value_kind:     hidden_remainder_y
      - .offset:         198
        .size:           2
        .value_kind:     hidden_remainder_z
      - .offset:         216
        .size:           8
        .value_kind:     hidden_global_offset_x
      - .offset:         224
        .size:           8
        .value_kind:     hidden_global_offset_y
      - .offset:         232
        .size:           8
        .value_kind:     hidden_global_offset_z
      - .offset:         240
        .size:           2
        .value_kind:     hidden_grid_dims
    .group_segment_fixed_size: 0
    .kernarg_segment_align: 8
    .kernarg_segment_size: 432
    .language:       OpenCL C
    .language_version:
      - 2
      - 0
    .max_flat_workgroup_size: 1024
    .name:           _Z31applyMaterialPropertiesForElemsPKdS0_S0_PKiS2_PdS3_S3_S3_S3_S3_ddddddddddi
    .private_segment_fixed_size: 0
    .sgpr_count:     36
    .sgpr_spill_count: 0
    .symbol:         _Z31applyMaterialPropertiesForElemsPKdS0_S0_PKiS2_PdS3_S3_S3_S3_S3_ddddddddddi.kd
    .uniform_work_group_size: 1
    .uses_dynamic_stack: false
    .vgpr_count:     53
    .vgpr_spill_count: 0
    .wavefront_size: 64
amdhsa.target:   amdgcn-amd-amdhsa--gfx950
amdhsa.version:
  - 1
  - 2
...

	.end_amdgpu_metadata
